;; amdgpu-corpus repo=ROCm/rocFFT kind=compiled arch=gfx1030 opt=O3
	.text
	.amdgcn_target "amdgcn-amd-amdhsa--gfx1030"
	.amdhsa_code_object_version 6
	.protected	fft_rtc_back_len884_factors_13_4_17_wgs_204_tpt_68_halfLds_sp_ip_CI_unitstride_sbrr_dirReg ; -- Begin function fft_rtc_back_len884_factors_13_4_17_wgs_204_tpt_68_halfLds_sp_ip_CI_unitstride_sbrr_dirReg
	.globl	fft_rtc_back_len884_factors_13_4_17_wgs_204_tpt_68_halfLds_sp_ip_CI_unitstride_sbrr_dirReg
	.p2align	8
	.type	fft_rtc_back_len884_factors_13_4_17_wgs_204_tpt_68_halfLds_sp_ip_CI_unitstride_sbrr_dirReg,@function
fft_rtc_back_len884_factors_13_4_17_wgs_204_tpt_68_halfLds_sp_ip_CI_unitstride_sbrr_dirReg: ; @fft_rtc_back_len884_factors_13_4_17_wgs_204_tpt_68_halfLds_sp_ip_CI_unitstride_sbrr_dirReg
; %bb.0:
	s_load_dwordx4 s[8:11], s[4:5], 0x0
	v_mul_u32_u24_e32 v1, 0x3c4, v0
	s_clause 0x1
	s_load_dwordx2 s[2:3], s[4:5], 0x50
	s_load_dwordx2 s[12:13], s[4:5], 0x18
	v_lshrrev_b32_e32 v2, 16, v1
	v_mov_b32_e32 v1, 0
	v_mad_u64_u32 v[20:21], null, s6, 3, v[2:3]
	v_mov_b32_e32 v21, v1
	v_mov_b32_e32 v3, 0
	;; [unrolled: 1-line block ×4, first 2 shown]
	s_waitcnt lgkmcnt(0)
	v_cmp_lt_u64_e64 s0, s[10:11], 2
	v_mov_b32_e32 v8, v21
	s_and_b32 vcc_lo, exec_lo, s0
	s_cbranch_vccnz .LBB0_8
; %bb.1:
	s_load_dwordx2 s[0:1], s[4:5], 0x10
	v_mov_b32_e32 v3, 0
	v_mov_b32_e32 v5, v20
	s_add_u32 s6, s12, 8
	v_mov_b32_e32 v4, 0
	v_mov_b32_e32 v6, v21
	s_addc_u32 s7, s13, 0
	s_mov_b64 s[16:17], 1
	s_waitcnt lgkmcnt(0)
	s_add_u32 s14, s0, 8
	s_addc_u32 s15, s1, 0
.LBB0_2:                                ; =>This Inner Loop Header: Depth=1
	s_load_dwordx2 s[18:19], s[14:15], 0x0
                                        ; implicit-def: $vgpr7_vgpr8
	s_mov_b32 s0, exec_lo
	s_waitcnt lgkmcnt(0)
	v_or_b32_e32 v2, s19, v6
	v_cmpx_ne_u64_e32 0, v[1:2]
	s_xor_b32 s1, exec_lo, s0
	s_cbranch_execz .LBB0_4
; %bb.3:                                ;   in Loop: Header=BB0_2 Depth=1
	v_cvt_f32_u32_e32 v2, s18
	v_cvt_f32_u32_e32 v7, s19
	s_sub_u32 s0, 0, s18
	s_subb_u32 s20, 0, s19
	v_fmac_f32_e32 v2, 0x4f800000, v7
	v_rcp_f32_e32 v2, v2
	v_mul_f32_e32 v2, 0x5f7ffffc, v2
	v_mul_f32_e32 v7, 0x2f800000, v2
	v_trunc_f32_e32 v7, v7
	v_fmac_f32_e32 v2, 0xcf800000, v7
	v_cvt_u32_f32_e32 v7, v7
	v_cvt_u32_f32_e32 v2, v2
	v_mul_lo_u32 v8, s0, v7
	v_mul_hi_u32 v9, s0, v2
	v_mul_lo_u32 v10, s20, v2
	v_add_nc_u32_e32 v8, v9, v8
	v_mul_lo_u32 v9, s0, v2
	v_add_nc_u32_e32 v8, v8, v10
	v_mul_hi_u32 v10, v2, v9
	v_mul_lo_u32 v11, v2, v8
	v_mul_hi_u32 v12, v2, v8
	v_mul_hi_u32 v13, v7, v9
	v_mul_lo_u32 v9, v7, v9
	v_mul_hi_u32 v14, v7, v8
	v_mul_lo_u32 v8, v7, v8
	v_add_co_u32 v10, vcc_lo, v10, v11
	v_add_co_ci_u32_e32 v11, vcc_lo, 0, v12, vcc_lo
	v_add_co_u32 v9, vcc_lo, v10, v9
	v_add_co_ci_u32_e32 v9, vcc_lo, v11, v13, vcc_lo
	v_add_co_ci_u32_e32 v10, vcc_lo, 0, v14, vcc_lo
	v_add_co_u32 v8, vcc_lo, v9, v8
	v_add_co_ci_u32_e32 v9, vcc_lo, 0, v10, vcc_lo
	v_add_co_u32 v2, vcc_lo, v2, v8
	v_add_co_ci_u32_e32 v7, vcc_lo, v7, v9, vcc_lo
	v_mul_hi_u32 v8, s0, v2
	v_mul_lo_u32 v10, s20, v2
	v_mul_lo_u32 v9, s0, v7
	v_add_nc_u32_e32 v8, v8, v9
	v_mul_lo_u32 v9, s0, v2
	v_add_nc_u32_e32 v8, v8, v10
	v_mul_hi_u32 v10, v2, v9
	v_mul_lo_u32 v11, v2, v8
	v_mul_hi_u32 v12, v2, v8
	v_mul_hi_u32 v13, v7, v9
	v_mul_lo_u32 v9, v7, v9
	v_mul_hi_u32 v14, v7, v8
	v_mul_lo_u32 v8, v7, v8
	v_add_co_u32 v10, vcc_lo, v10, v11
	v_add_co_ci_u32_e32 v11, vcc_lo, 0, v12, vcc_lo
	v_add_co_u32 v9, vcc_lo, v10, v9
	v_add_co_ci_u32_e32 v9, vcc_lo, v11, v13, vcc_lo
	v_add_co_ci_u32_e32 v10, vcc_lo, 0, v14, vcc_lo
	v_add_co_u32 v8, vcc_lo, v9, v8
	v_add_co_ci_u32_e32 v9, vcc_lo, 0, v10, vcc_lo
	v_add_co_u32 v2, vcc_lo, v2, v8
	v_add_co_ci_u32_e32 v11, vcc_lo, v7, v9, vcc_lo
	v_mul_hi_u32 v13, v5, v2
	v_mad_u64_u32 v[9:10], null, v6, v2, 0
	v_mad_u64_u32 v[7:8], null, v5, v11, 0
	v_mad_u64_u32 v[11:12], null, v6, v11, 0
	v_add_co_u32 v2, vcc_lo, v13, v7
	v_add_co_ci_u32_e32 v7, vcc_lo, 0, v8, vcc_lo
	v_add_co_u32 v2, vcc_lo, v2, v9
	v_add_co_ci_u32_e32 v2, vcc_lo, v7, v10, vcc_lo
	v_add_co_ci_u32_e32 v7, vcc_lo, 0, v12, vcc_lo
	v_add_co_u32 v2, vcc_lo, v2, v11
	v_add_co_ci_u32_e32 v9, vcc_lo, 0, v7, vcc_lo
	v_mul_lo_u32 v10, s19, v2
	v_mad_u64_u32 v[7:8], null, s18, v2, 0
	v_mul_lo_u32 v11, s18, v9
	v_sub_co_u32 v7, vcc_lo, v5, v7
	v_add3_u32 v8, v8, v11, v10
	v_sub_nc_u32_e32 v10, v6, v8
	v_subrev_co_ci_u32_e64 v10, s0, s19, v10, vcc_lo
	v_add_co_u32 v11, s0, v2, 2
	v_add_co_ci_u32_e64 v12, s0, 0, v9, s0
	v_sub_co_u32 v13, s0, v7, s18
	v_sub_co_ci_u32_e32 v8, vcc_lo, v6, v8, vcc_lo
	v_subrev_co_ci_u32_e64 v10, s0, 0, v10, s0
	v_cmp_le_u32_e32 vcc_lo, s18, v13
	v_cmp_eq_u32_e64 s0, s19, v8
	v_cndmask_b32_e64 v13, 0, -1, vcc_lo
	v_cmp_le_u32_e32 vcc_lo, s19, v10
	v_cndmask_b32_e64 v14, 0, -1, vcc_lo
	v_cmp_le_u32_e32 vcc_lo, s18, v7
	;; [unrolled: 2-line block ×3, first 2 shown]
	v_cndmask_b32_e64 v15, 0, -1, vcc_lo
	v_cmp_eq_u32_e32 vcc_lo, s19, v10
	v_cndmask_b32_e64 v7, v15, v7, s0
	v_cndmask_b32_e32 v10, v14, v13, vcc_lo
	v_add_co_u32 v13, vcc_lo, v2, 1
	v_add_co_ci_u32_e32 v14, vcc_lo, 0, v9, vcc_lo
	v_cmp_ne_u32_e32 vcc_lo, 0, v10
	v_cndmask_b32_e32 v8, v14, v12, vcc_lo
	v_cndmask_b32_e32 v10, v13, v11, vcc_lo
	v_cmp_ne_u32_e32 vcc_lo, 0, v7
	v_cndmask_b32_e32 v8, v9, v8, vcc_lo
	v_cndmask_b32_e32 v7, v2, v10, vcc_lo
.LBB0_4:                                ;   in Loop: Header=BB0_2 Depth=1
	s_andn2_saveexec_b32 s0, s1
	s_cbranch_execz .LBB0_6
; %bb.5:                                ;   in Loop: Header=BB0_2 Depth=1
	v_cvt_f32_u32_e32 v2, s18
	s_sub_i32 s1, 0, s18
	v_rcp_iflag_f32_e32 v2, v2
	v_mul_f32_e32 v2, 0x4f7ffffe, v2
	v_cvt_u32_f32_e32 v2, v2
	v_mul_lo_u32 v7, s1, v2
	v_mul_hi_u32 v7, v2, v7
	v_add_nc_u32_e32 v2, v2, v7
	v_mul_hi_u32 v2, v5, v2
	v_mul_lo_u32 v7, v2, s18
	v_add_nc_u32_e32 v8, 1, v2
	v_sub_nc_u32_e32 v7, v5, v7
	v_subrev_nc_u32_e32 v9, s18, v7
	v_cmp_le_u32_e32 vcc_lo, s18, v7
	v_cndmask_b32_e32 v7, v7, v9, vcc_lo
	v_cndmask_b32_e32 v2, v2, v8, vcc_lo
	v_cmp_le_u32_e32 vcc_lo, s18, v7
	v_add_nc_u32_e32 v8, 1, v2
	v_cndmask_b32_e32 v7, v2, v8, vcc_lo
	v_mov_b32_e32 v8, v1
.LBB0_6:                                ;   in Loop: Header=BB0_2 Depth=1
	s_or_b32 exec_lo, exec_lo, s0
	s_load_dwordx2 s[0:1], s[6:7], 0x0
	v_mul_lo_u32 v2, v8, s18
	v_mul_lo_u32 v11, v7, s19
	v_mad_u64_u32 v[9:10], null, v7, s18, 0
	s_add_u32 s16, s16, 1
	s_addc_u32 s17, s17, 0
	s_add_u32 s6, s6, 8
	s_addc_u32 s7, s7, 0
	;; [unrolled: 2-line block ×3, first 2 shown]
	v_add3_u32 v2, v10, v11, v2
	v_sub_co_u32 v5, vcc_lo, v5, v9
	v_sub_co_ci_u32_e32 v2, vcc_lo, v6, v2, vcc_lo
	s_waitcnt lgkmcnt(0)
	v_mul_lo_u32 v6, s1, v5
	v_mul_lo_u32 v2, s0, v2
	v_mad_u64_u32 v[3:4], null, s0, v5, v[3:4]
	v_cmp_ge_u64_e64 s0, s[16:17], s[10:11]
	s_and_b32 vcc_lo, exec_lo, s0
	v_add3_u32 v4, v6, v4, v2
	s_cbranch_vccnz .LBB0_8
; %bb.7:                                ;   in Loop: Header=BB0_2 Depth=1
	v_mov_b32_e32 v5, v7
	v_mov_b32_e32 v6, v8
	s_branch .LBB0_2
.LBB0_8:
	s_lshl_b64 s[0:1], s[10:11], 3
	v_mov_b32_e32 v14, 0
	s_add_u32 s0, s12, s0
	s_addc_u32 s1, s13, s1
	v_mov_b32_e32 v15, 0
	s_load_dwordx2 s[0:1], s[0:1], 0x0
	s_load_dwordx2 s[4:5], s[4:5], 0x20
                                        ; implicit-def: $vgpr43
                                        ; implicit-def: $vgpr41
                                        ; implicit-def: $vgpr13
                                        ; implicit-def: $vgpr9
                                        ; implicit-def: $vgpr11
                                        ; implicit-def: $vgpr35
                                        ; implicit-def: $vgpr37
                                        ; implicit-def: $vgpr39
	s_waitcnt lgkmcnt(0)
	v_mul_lo_u32 v5, s0, v8
	v_mul_lo_u32 v6, s1, v7
	v_mad_u64_u32 v[1:2], null, s0, v7, v[3:4]
	v_mul_hi_u32 v3, 0x3c3c3c4, v0
	v_cmp_gt_u64_e32 vcc_lo, s[4:5], v[7:8]
                                        ; implicit-def: $vgpr7
	v_add3_u32 v2, v6, v2, v5
                                        ; implicit-def: $vgpr5
	v_mul_u32_u24_e32 v3, 0x44, v3
	v_lshlrev_b64 v[18:19], 3, v[1:2]
                                        ; implicit-def: $vgpr1
	v_sub_nc_u32_e32 v16, v0, v3
                                        ; implicit-def: $vgpr3
	s_and_saveexec_b32 s1, vcc_lo
	s_cbranch_execz .LBB0_10
; %bb.9:
	v_mov_b32_e32 v17, 0
	v_add_co_u32 v2, s0, s2, v18
	v_add_co_ci_u32_e64 v3, s0, s3, v19, s0
	v_lshlrev_b64 v[0:1], 3, v[16:17]
	v_add_co_u32 v6, s0, v2, v0
	v_add_co_ci_u32_e64 v7, s0, v3, v1, s0
	v_add_co_u32 v2, s0, 0x800, v6
	v_add_co_ci_u32_e64 v3, s0, 0, v7, s0
	;; [unrolled: 2-line block ×3, first 2 shown]
	s_clause 0x7
	global_load_dwordx2 v[14:15], v[6:7], off
	global_load_dwordx2 v[42:43], v[6:7], off offset:544
	global_load_dwordx2 v[40:41], v[6:7], off offset:1088
	global_load_dwordx2 v[12:13], v[6:7], off offset:1632
	global_load_dwordx2 v[8:9], v[2:3], off offset:128
	global_load_dwordx2 v[4:5], v[2:3], off offset:672
	global_load_dwordx2 v[0:1], v[2:3], off offset:1216
	global_load_dwordx2 v[2:3], v[2:3], off offset:1760
	v_add_co_u32 v23, s0, 0x1800, v6
	v_add_co_ci_u32_e64 v24, s0, 0, v7, s0
	s_clause 0x4
	global_load_dwordx2 v[6:7], v[21:22], off offset:256
	global_load_dwordx2 v[10:11], v[21:22], off offset:800
	;; [unrolled: 1-line block ×5, first 2 shown]
.LBB0_10:
	s_or_b32 exec_lo, exec_lo, s1
	s_waitcnt vmcnt(11)
	v_add_f32_e32 v17, v42, v14
	v_mul_hi_u32 v21, 0xaaaaaaab, v20
	s_waitcnt vmcnt(0)
	v_sub_f32_e32 v22, v43, v37
	v_add_f32_e32 v23, v42, v36
	v_sub_f32_e32 v25, v41, v39
	v_add_f32_e32 v17, v40, v17
	v_add_f32_e32 v24, v40, v38
	v_mul_f32_e32 v26, 0xbeedf032, v22
	v_mul_f32_e32 v27, 0xbf52af12, v22
	v_lshrrev_b32_e32 v21, 1, v21
	v_add_f32_e32 v17, v12, v17
	v_mul_f32_e32 v28, 0xbf7e222b, v22
	v_mul_f32_e32 v29, 0xbf6f5d39, v22
	;; [unrolled: 1-line block ×4, first 2 shown]
	v_add_f32_e32 v17, v8, v17
	v_mul_f32_e32 v31, 0xbf52af12, v25
	v_fmamk_f32 v33, v23, 0x3f62ad3f, v26
	v_fma_f32 v26, 0x3f62ad3f, v23, -v26
	v_lshl_add_u32 v21, v21, 1, v21
	v_add_f32_e32 v17, v4, v17
	v_mul_f32_e32 v32, 0xbf6f5d39, v25
	v_fmamk_f32 v44, v23, 0x3f116cb1, v27
	v_fma_f32 v27, 0x3f116cb1, v23, -v27
	v_fmamk_f32 v45, v23, 0x3df6dbef, v28
	v_add_f32_e32 v17, v0, v17
	v_fma_f32 v28, 0x3df6dbef, v23, -v28
	v_fmamk_f32 v46, v23, 0xbeb58ec6, v29
	v_fma_f32 v29, 0xbeb58ec6, v23, -v29
	v_fmamk_f32 v47, v23, 0xbf3f9e67, v30
	v_add_f32_e32 v17, v2, v17
	v_fma_f32 v30, 0xbf3f9e67, v23, -v30
	;; [unrolled: 5-line block ×3, first 2 shown]
	v_add_f32_e32 v33, v33, v14
	v_add_f32_e32 v26, v26, v14
	v_sub_nc_u32_e32 v20, v20, v21
	v_add_f32_e32 v17, v10, v17
	v_add_f32_e32 v44, v44, v14
	;; [unrolled: 1-line block ×14, first 2 shown]
	v_mul_u32_u24_e32 v17, 0x374, v20
	v_add_f32_e32 v20, v36, v21
	v_fmamk_f32 v21, v24, 0xbeb58ec6, v32
	v_mul_f32_e32 v23, 0xbe750f2a, v25
	v_fma_f32 v32, 0xbeb58ec6, v24, -v32
	v_add_f32_e32 v26, v31, v26
	v_mul_f32_e32 v31, 0x3f29c268, v25
	v_add_f32_e32 v21, v21, v44
	v_fmamk_f32 v33, v24, 0xbf788fa5, v23
	v_add_f32_e32 v27, v32, v27
	v_fma_f32 v23, 0xbf788fa5, v24, -v23
	v_fmamk_f32 v32, v24, 0xbf3f9e67, v31
	v_fma_f32 v31, 0xbf3f9e67, v24, -v31
	v_mul_f32_e32 v44, 0x3f7e222b, v25
	v_mul_f32_e32 v25, 0x3eedf032, v25
	v_add_f32_e32 v23, v23, v28
	v_add_f32_e32 v28, v32, v46
	v_add_f32_e32 v29, v31, v29
	v_sub_f32_e32 v31, v13, v35
	v_fmamk_f32 v32, v24, 0x3df6dbef, v44
	v_add_f32_e32 v33, v33, v45
	v_fma_f32 v44, 0x3df6dbef, v24, -v44
	v_add_f32_e32 v45, v12, v34
	v_mul_f32_e32 v46, 0xbf7e222b, v31
	v_add_f32_e32 v32, v32, v47
	v_fmamk_f32 v47, v24, 0x3f62ad3f, v25
	v_fma_f32 v24, 0x3f62ad3f, v24, -v25
	v_add_f32_e32 v25, v44, v30
	v_fmamk_f32 v30, v45, 0x3df6dbef, v46
	v_mul_f32_e32 v44, 0xbe750f2a, v31
	v_add_f32_e32 v47, v47, v48
	v_add_f32_e32 v14, v24, v14
	v_fma_f32 v24, 0x3df6dbef, v45, -v46
	v_add_f32_e32 v22, v30, v22
	v_fmamk_f32 v30, v45, 0xbf788fa5, v44
	v_mul_f32_e32 v46, 0x3f6f5d39, v31
	v_fma_f32 v44, 0xbf788fa5, v45, -v44
	v_add_f32_e32 v24, v24, v26
	v_mul_f32_e32 v26, 0x3eedf032, v31
	v_add_f32_e32 v21, v30, v21
	v_fmamk_f32 v30, v45, 0xbeb58ec6, v46
	v_add_f32_e32 v27, v44, v27
	v_fma_f32 v44, 0xbeb58ec6, v45, -v46
	v_fmamk_f32 v46, v45, 0x3f62ad3f, v26
	v_fma_f32 v26, 0x3f62ad3f, v45, -v26
	v_add_f32_e32 v30, v30, v33
	v_mul_f32_e32 v33, 0xbf52af12, v31
	v_add_f32_e32 v23, v44, v23
	v_add_f32_e32 v28, v46, v28
	;; [unrolled: 1-line block ×3, first 2 shown]
	v_sub_f32_e32 v29, v9, v11
	v_fmamk_f32 v44, v45, 0x3f116cb1, v33
	v_mul_f32_e32 v31, 0xbf29c268, v31
	v_fma_f32 v33, 0x3f116cb1, v45, -v33
	v_add_f32_e32 v46, v8, v10
	v_mul_f32_e32 v48, 0xbf6f5d39, v29
	v_add_f32_e32 v32, v44, v32
	v_fmamk_f32 v44, v45, 0xbf3f9e67, v31
	v_add_f32_e32 v25, v33, v25
	v_fma_f32 v31, 0xbf3f9e67, v45, -v31
	v_fmamk_f32 v33, v46, 0xbeb58ec6, v48
	v_mul_f32_e32 v45, 0x3f29c268, v29
	v_add_f32_e32 v44, v44, v47
	v_fma_f32 v47, 0xbeb58ec6, v46, -v48
	v_add_f32_e32 v14, v31, v14
	v_add_f32_e32 v22, v33, v22
	v_fmamk_f32 v31, v46, 0xbf3f9e67, v45
	v_mul_f32_e32 v33, 0x3eedf032, v29
	v_add_f32_e32 v24, v47, v24
	v_fma_f32 v45, 0xbf3f9e67, v46, -v45
	v_mul_f32_e32 v47, 0xbf7e222b, v29
	v_add_f32_e32 v21, v31, v21
	v_fmamk_f32 v31, v46, 0x3f62ad3f, v33
	v_fma_f32 v33, 0x3f62ad3f, v46, -v33
	v_add_f32_e32 v27, v45, v27
	v_fmamk_f32 v45, v46, 0x3df6dbef, v47
	v_fma_f32 v47, 0x3df6dbef, v46, -v47
	v_add_f32_e32 v30, v31, v30
	v_add_f32_e32 v23, v33, v23
	v_mul_f32_e32 v31, 0x3e750f2a, v29
	v_sub_f32_e32 v33, v5, v7
	v_mul_f32_e32 v29, 0x3f52af12, v29
	v_add_f32_e32 v28, v45, v28
	v_add_f32_e32 v26, v47, v26
	v_fmamk_f32 v45, v46, 0xbf788fa5, v31
	v_fma_f32 v31, 0xbf788fa5, v46, -v31
	v_add_f32_e32 v47, v4, v6
	v_mul_f32_e32 v48, 0xbf29c268, v33
	v_fmamk_f32 v49, v46, 0x3f116cb1, v29
	v_fma_f32 v29, 0x3f116cb1, v46, -v29
	v_add_f32_e32 v32, v45, v32
	v_add_f32_e32 v25, v31, v25
	v_fmamk_f32 v31, v47, 0xbf3f9e67, v48
	v_mul_f32_e32 v45, 0x3f7e222b, v33
	v_fma_f32 v46, 0xbf3f9e67, v47, -v48
	v_add_f32_e32 v14, v29, v14
	v_mul_f32_e32 v29, 0xbf52af12, v33
	v_add_f32_e32 v22, v31, v22
	v_fmamk_f32 v31, v47, 0x3df6dbef, v45
	v_add_f32_e32 v24, v46, v24
	v_fma_f32 v45, 0x3df6dbef, v47, -v45
	v_mul_f32_e32 v46, 0x3e750f2a, v33
	v_fmamk_f32 v48, v47, 0x3f116cb1, v29
	v_fma_f32 v29, 0x3f116cb1, v47, -v29
	v_add_f32_e32 v21, v31, v21
	v_add_f32_e32 v27, v45, v27
	v_fmamk_f32 v31, v47, 0xbf788fa5, v46
	v_fma_f32 v45, 0xbf788fa5, v47, -v46
	v_add_f32_e32 v23, v29, v23
	v_mul_f32_e32 v29, 0x3eedf032, v33
	v_add_f32_e32 v44, v49, v44
	v_add_f32_e32 v28, v31, v28
	v_mul_f32_e32 v31, 0xbf6f5d39, v33
	v_add_f32_e32 v33, v45, v26
	v_sub_f32_e32 v45, v1, v3
	v_fmamk_f32 v26, v47, 0x3f62ad3f, v29
	v_add_f32_e32 v30, v48, v30
	v_fma_f32 v29, 0x3f62ad3f, v47, -v29
	v_fmamk_f32 v46, v47, 0xbeb58ec6, v31
	v_add_f32_e32 v48, v0, v2
	v_mul_f32_e32 v49, 0xbe750f2a, v45
	v_add_f32_e32 v32, v26, v32
	v_fma_f32 v26, 0xbeb58ec6, v47, -v31
	v_add_f32_e32 v25, v29, v25
	v_add_f32_e32 v29, v46, v44
	v_fmamk_f32 v31, v48, 0xbf788fa5, v49
	v_mul_f32_e32 v44, 0x3eedf032, v45
	v_fma_f32 v46, 0xbf788fa5, v48, -v49
	v_add_f32_e32 v47, v26, v14
	v_mul_f32_e32 v14, 0xbf29c268, v45
	v_add_f32_e32 v22, v31, v22
	v_fmamk_f32 v31, v48, 0x3f62ad3f, v44
	v_add_f32_e32 v26, v46, v24
	v_fma_f32 v24, 0x3f62ad3f, v48, -v44
	v_fmamk_f32 v44, v48, 0xbf3f9e67, v14
	v_mul_f32_e32 v46, 0x3f52af12, v45
	v_add_f32_e32 v21, v31, v21
	v_fma_f32 v14, 0xbf3f9e67, v48, -v14
	v_add_f32_e32 v24, v24, v27
	v_add_f32_e32 v27, v44, v30
	v_fmamk_f32 v30, v48, 0x3f116cb1, v46
	v_fma_f32 v31, 0x3f116cb1, v48, -v46
	v_add_f32_e32 v23, v14, v23
	v_mul_f32_e32 v14, 0xbf6f5d39, v45
	v_mul_f32_e32 v44, 0x3f7e222b, v45
	v_add_f32_e32 v28, v30, v28
	v_add_f32_e32 v30, v31, v33
	v_lshl_add_u32 v31, v17, 2, 0
	v_fmamk_f32 v33, v48, 0xbeb58ec6, v14
	v_fma_f32 v46, 0xbeb58ec6, v48, -v14
	v_fmamk_f32 v45, v48, 0x3df6dbef, v44
	v_fma_f32 v44, 0x3df6dbef, v48, -v44
	v_mad_u32_u24 v14, v16, 52, v31
	v_add_f32_e32 v32, v33, v32
	v_add_f32_e32 v25, v46, v25
	;; [unrolled: 1-line block ×4, first 2 shown]
	v_mad_i32_i24 v48, 0xffffffd0, v16, v14
	ds_write2_b32 v14, v20, v22 offset1:1
	ds_write2_b32 v14, v21, v27 offset0:2 offset1:3
	ds_write2_b32 v14, v28, v32 offset0:4 offset1:5
	;; [unrolled: 1-line block ×5, first 2 shown]
	ds_write_b32 v14, v26 offset:48
	s_waitcnt lgkmcnt(0)
	s_barrier
	v_add_nc_u32_e32 v44, 0x200, v48
	v_add_nc_u32_e32 v45, 0x400, v48
	;; [unrolled: 1-line block ×4, first 2 shown]
	buffer_gl0_inv
	v_lshl_add_u32 v49, v16, 2, v31
	ds_read2_b32 v[32:33], v44 offset0:93 offset1:161
	ds_read2_b32 v[22:23], v45 offset0:101 offset1:186
	;; [unrolled: 1-line block ×5, first 2 shown]
	ds_read_b32 v50, v49
	ds_read_b32 v51, v48 offset:3196
	v_cmp_gt_u32_e64 s0, 17, v16
                                        ; implicit-def: $vgpr24
	s_and_saveexec_b32 s1, s0
	s_cbranch_execz .LBB0_12
; %bb.11:
	v_add_nc_u32_e32 v24, 0x300, v48
	v_add_nc_u32_e32 v25, 0xa00, v48
	ds_read2_b32 v[26:27], v24 offset0:12 offset1:233
	ds_read2_b32 v[24:25], v25 offset0:6 offset1:227
.LBB0_12:
	s_or_b32 exec_lo, exec_lo, s1
	v_add_f32_e32 v46, v43, v15
	v_sub_f32_e32 v38, v40, v38
	v_sub_f32_e32 v36, v42, v36
	v_add_f32_e32 v42, v43, v37
	v_add_f32_e32 v43, v41, v39
	;; [unrolled: 1-line block ×3, first 2 shown]
	v_mul_f32_e32 v57, 0xbf6f5d39, v38
	v_mul_f32_e32 v46, 0xbf52af12, v36
	;; [unrolled: 1-line block ×4, first 2 shown]
	v_add_f32_e32 v40, v13, v40
	v_mul_f32_e32 v54, 0xbf6f5d39, v36
	v_fma_f32 v61, 0x3f116cb1, v42, -v46
	v_fmac_f32_e32 v46, 0x3f116cb1, v42
	v_mul_f32_e32 v55, 0xbf29c268, v36
	v_add_f32_e32 v40, v9, v40
	v_mul_f32_e32 v36, 0xbe750f2a, v36
	v_mul_f32_e32 v56, 0xbf52af12, v38
	v_fma_f32 v60, 0x3f62ad3f, v42, -v41
	v_fma_f32 v66, 0xbeb58ec6, v43, -v57
	v_add_f32_e32 v40, v5, v40
	v_fmac_f32_e32 v57, 0xbeb58ec6, v43
	v_add_f32_e32 v46, v46, v15
	v_mul_f32_e32 v58, 0xbe750f2a, v38
	v_fmac_f32_e32 v41, 0x3f62ad3f, v42
	v_add_f32_e32 v40, v1, v40
	v_fma_f32 v62, 0x3df6dbef, v42, -v47
	v_fmac_f32_e32 v47, 0x3df6dbef, v42
	v_fma_f32 v63, 0xbeb58ec6, v42, -v54
	v_fmac_f32_e32 v54, 0xbeb58ec6, v42
	v_add_f32_e32 v40, v3, v40
	v_fma_f32 v64, 0xbf3f9e67, v42, -v55
	v_fmac_f32_e32 v55, 0xbf3f9e67, v42
	v_fma_f32 v65, 0xbf788fa5, v42, -v36
	v_fmac_f32_e32 v36, 0xbf788fa5, v42
	v_add_f32_e32 v40, v7, v40
	v_fma_f32 v42, 0x3f116cb1, v43, -v56
	v_add_f32_e32 v60, v60, v15
	v_add_f32_e32 v46, v57, v46
	v_mul_f32_e32 v57, 0x3f7e222b, v38
	v_add_f32_e32 v40, v11, v40
	v_sub_f32_e32 v12, v12, v34
	v_mul_f32_e32 v59, 0x3f29c268, v38
	v_fmac_f32_e32 v56, 0x3f116cb1, v43
	v_add_f32_e32 v41, v41, v15
	v_add_f32_e32 v40, v35, v40
	;; [unrolled: 1-line block ×13, first 2 shown]
	v_fma_f32 v42, 0xbf788fa5, v43, -v58
	v_fmac_f32_e32 v58, 0xbf788fa5, v43
	v_fma_f32 v34, 0x3df6dbef, v43, -v57
	v_mul_f32_e32 v38, 0x3eedf032, v38
	v_fmac_f32_e32 v57, 0x3df6dbef, v43
	v_add_f32_e32 v13, v13, v35
	v_mul_f32_e32 v35, 0xbf7e222b, v12
	v_add_f32_e32 v41, v56, v41
	v_fma_f32 v56, 0xbf3f9e67, v43, -v59
	v_fmac_f32_e32 v59, 0xbf3f9e67, v43
	v_add_f32_e32 v47, v58, v47
	v_fma_f32 v58, 0x3f62ad3f, v43, -v38
	v_fmac_f32_e32 v38, 0x3f62ad3f, v43
	v_add_f32_e32 v43, v57, v55
	v_fma_f32 v55, 0x3df6dbef, v13, -v35
	v_mul_f32_e32 v57, 0xbe750f2a, v12
	v_add_f32_e32 v37, v37, v39
	v_add_f32_e32 v39, v66, v61
	;; [unrolled: 1-line block ×4, first 2 shown]
	v_fma_f32 v38, 0xbf788fa5, v13, -v57
	v_mul_f32_e32 v55, 0x3f6f5d39, v12
	v_add_f32_e32 v42, v42, v62
	v_fmac_f32_e32 v35, 0x3df6dbef, v13
	v_sub_f32_e32 v8, v8, v10
	v_add_f32_e32 v38, v38, v39
	v_fma_f32 v39, 0xbeb58ec6, v13, -v55
	v_add_f32_e32 v34, v34, v64
	v_fmac_f32_e32 v57, 0xbf788fa5, v13
	v_add_f32_e32 v35, v35, v41
	v_mul_f32_e32 v41, 0x3eedf032, v12
	v_add_f32_e32 v39, v39, v42
	v_mul_f32_e32 v42, 0xbf52af12, v12
	v_mul_f32_e32 v12, 0xbf29c268, v12
	v_add_f32_e32 v9, v9, v11
	v_mul_f32_e32 v11, 0xbf6f5d39, v8
	v_add_f32_e32 v40, v58, v40
	v_fma_f32 v10, 0x3f116cb1, v13, -v42
	v_fmac_f32_e32 v42, 0x3f116cb1, v13
	v_add_f32_e32 v46, v57, v46
	v_fmac_f32_e32 v55, 0xbeb58ec6, v13
	v_fma_f32 v57, 0x3f62ad3f, v13, -v41
	v_fmac_f32_e32 v41, 0x3f62ad3f, v13
	v_add_f32_e32 v10, v10, v34
	v_fma_f32 v34, 0xbf3f9e67, v13, -v12
	v_fmac_f32_e32 v12, 0xbf3f9e67, v13
	v_add_f32_e32 v13, v42, v43
	v_fma_f32 v42, 0xbeb58ec6, v9, -v11
	v_mul_f32_e32 v43, 0x3f29c268, v8
	v_add_f32_e32 v34, v34, v40
	v_add_f32_e32 v12, v12, v15
	v_mul_f32_e32 v40, 0x3eedf032, v8
	v_add_f32_e32 v15, v42, v36
	v_fma_f32 v36, 0xbf3f9e67, v9, -v43
	v_fmac_f32_e32 v11, 0xbeb58ec6, v9
	v_sub_f32_e32 v4, v4, v6
	v_fmac_f32_e32 v43, 0xbf3f9e67, v9
	v_add_f32_e32 v5, v5, v7
	v_add_f32_e32 v36, v36, v38
	v_fma_f32 v38, 0x3f62ad3f, v9, -v40
	v_add_f32_e32 v11, v11, v35
	v_mul_f32_e32 v35, 0xbf7e222b, v8
	v_mul_f32_e32 v7, 0xbf29c268, v4
	v_add_f32_e32 v42, v43, v46
	v_add_f32_e32 v38, v38, v39
	v_mul_f32_e32 v39, 0x3e750f2a, v8
	v_mul_f32_e32 v8, 0x3f52af12, v8
	v_fmac_f32_e32 v40, 0x3f62ad3f, v9
	v_fma_f32 v43, 0x3df6dbef, v9, -v35
	v_fmac_f32_e32 v35, 0x3df6dbef, v9
	v_fma_f32 v6, 0xbf788fa5, v9, -v39
	v_fmac_f32_e32 v39, 0xbf788fa5, v9
	v_add_f32_e32 v54, v59, v54
	v_sub_f32_e32 v0, v0, v2
	v_mul_f32_e32 v2, 0xbf6f5d39, v4
	v_add_f32_e32 v6, v6, v10
	v_fma_f32 v10, 0x3f116cb1, v9, -v8
	v_fmac_f32_e32 v8, 0x3f116cb1, v9
	v_fma_f32 v9, 0xbf3f9e67, v5, -v7
	v_add_f32_e32 v13, v39, v13
	v_mul_f32_e32 v39, 0x3f7e222b, v4
	v_fmac_f32_e32 v7, 0xbf3f9e67, v5
	v_add_f32_e32 v41, v41, v54
	v_add_f32_e32 v9, v9, v15
	v_mul_f32_e32 v15, 0xbf52af12, v4
	v_add_f32_e32 v10, v10, v34
	v_add_f32_e32 v8, v8, v12
	v_fma_f32 v12, 0x3df6dbef, v5, -v39
	v_add_f32_e32 v7, v7, v11
	v_fmac_f32_e32 v39, 0x3df6dbef, v5
	v_mul_f32_e32 v11, 0x3e750f2a, v4
	v_fma_f32 v34, 0x3f116cb1, v5, -v15
	v_add_f32_e32 v35, v35, v41
	v_add_f32_e32 v12, v12, v36
	;; [unrolled: 1-line block ×3, first 2 shown]
	v_fma_f32 v39, 0xbf788fa5, v5, -v11
	v_fmac_f32_e32 v11, 0xbf788fa5, v5
	v_add_f32_e32 v38, v34, v38
	v_mul_f32_e32 v34, 0x3eedf032, v4
	v_add_f32_e32 v56, v56, v63
	v_add_f32_e32 v47, v55, v47
	;; [unrolled: 1-line block ×4, first 2 shown]
	v_fma_f32 v4, 0x3f62ad3f, v5, -v34
	v_fmac_f32_e32 v34, 0x3f62ad3f, v5
	v_mul_f32_e32 v3, 0xbe750f2a, v0
	v_fma_f32 v35, 0xbeb58ec6, v5, -v2
	v_fmac_f32_e32 v2, 0xbeb58ec6, v5
	v_add_f32_e32 v55, v57, v56
	v_add_f32_e32 v40, v40, v47
	v_fmac_f32_e32 v15, 0x3f116cb1, v5
	v_add_f32_e32 v4, v4, v6
	v_add_f32_e32 v6, v34, v13
	v_fma_f32 v5, 0xbf788fa5, v1, -v3
	v_mul_f32_e32 v13, 0x3eedf032, v0
	v_fmac_f32_e32 v3, 0xbf788fa5, v1
	v_add_f32_e32 v2, v2, v8
	v_mul_f32_e32 v8, 0xbf29c268, v0
	v_add_f32_e32 v43, v43, v55
	v_add_f32_e32 v15, v15, v40
	;; [unrolled: 1-line block ×4, first 2 shown]
	v_fma_f32 v9, 0x3f62ad3f, v1, -v13
	v_add_f32_e32 v34, v3, v7
	v_fmac_f32_e32 v13, 0x3f62ad3f, v1
	v_mul_f32_e32 v3, 0x3f52af12, v0
	v_fma_f32 v7, 0xbf3f9e67, v1, -v8
	v_fmac_f32_e32 v8, 0xbf3f9e67, v1
	v_mul_f32_e32 v35, 0xbf6f5d39, v0
	v_mul_f32_e32 v0, 0x3f7e222b, v0
	v_add_f32_e32 v39, v39, v43
	v_add_f32_e32 v9, v9, v12
	;; [unrolled: 1-line block ×3, first 2 shown]
	v_fma_f32 v13, 0x3f116cb1, v1, -v3
	v_add_f32_e32 v8, v8, v15
	v_fmac_f32_e32 v3, 0x3f116cb1, v1
	v_fma_f32 v15, 0xbeb58ec6, v1, -v35
	v_fmac_f32_e32 v35, 0xbeb58ec6, v1
	v_fma_f32 v36, 0x3df6dbef, v1, -v0
	v_fmac_f32_e32 v0, 0x3df6dbef, v1
	v_add_f32_e32 v7, v7, v38
	v_add_f32_e32 v13, v13, v39
	;; [unrolled: 1-line block ×7, first 2 shown]
	s_waitcnt lgkmcnt(0)
	s_barrier
	buffer_gl0_inv
	ds_write2_b32 v14, v37, v5 offset1:1
	ds_write2_b32 v14, v9, v7 offset0:2 offset1:3
	ds_write2_b32 v14, v13, v3 offset0:4 offset1:5
	;; [unrolled: 1-line block ×5, first 2 shown]
	ds_write_b32 v14, v34 offset:48
	s_waitcnt lgkmcnt(0)
	s_barrier
	buffer_gl0_inv
	ds_read2_b32 v[46:47], v44 offset0:93 offset1:161
	ds_read2_b32 v[44:45], v45 offset0:101 offset1:186
	;; [unrolled: 1-line block ×5, first 2 shown]
	ds_read_b32 v52, v49
	ds_read_b32 v59, v48 offset:3196
                                        ; implicit-def: $vgpr42
	s_and_saveexec_b32 s1, s0
	s_cbranch_execz .LBB0_14
; %bb.13:
	v_add_nc_u32_e32 v0, 0x300, v48
	v_add_nc_u32_e32 v1, 0xa00, v48
	ds_read2_b32 v[34:35], v0 offset0:12 offset1:233
	ds_read2_b32 v[42:43], v1 offset0:6 offset1:227
.LBB0_14:
	s_or_b32 exec_lo, exec_lo, s1
	v_and_b32_e32 v0, 0xff, v16
	v_add_nc_u32_e32 v55, 0xcc, v16
	v_mov_b32_e32 v1, 0x4ec5
	v_add_nc_u16 v2, v16, 0x44
	v_mov_b32_e32 v5, 3
	v_mul_lo_u16 v0, 0x4f, v0
	v_mul_u32_u24_sdwa v1, v55, v1 dst_sel:DWORD dst_unused:UNUSED_PAD src0_sel:WORD_0 src1_sel:DWORD
	v_and_b32_e32 v3, 0xff, v2
	v_lshrrev_b16 v54, 10, v0
	v_add_nc_u16 v0, v16, 0x88
	v_lshrrev_b32_e32 v1, 18, v1
	v_mul_lo_u16 v3, 0x4f, v3
	v_mul_lo_u16 v4, v54, 13
	v_and_b32_e32 v6, 0xff, v0
	v_mul_lo_u16 v1, v1, 13
	v_lshrrev_b16 v57, 10, v3
	v_and_b32_e32 v71, 0xffff, v54
	v_sub_nc_u16 v56, v16, v4
	v_mul_lo_u16 v4, 0x4f, v6
	v_sub_nc_u16 v53, v55, v1
	v_mul_lo_u16 v3, v57, 13
	v_and_b32_e32 v57, 0xffff, v57
	v_mul_u32_u24_sdwa v1, v56, v5 dst_sel:DWORD dst_unused:UNUSED_PAD src0_sel:BYTE_0 src1_sel:DWORD
	v_lshrrev_b16 v58, 10, v4
	v_mul_u32_u24_sdwa v4, v53, v5 dst_sel:DWORD dst_unused:UNUSED_PAD src0_sel:WORD_0 src1_sel:DWORD
	v_sub_nc_u16 v69, v2, v3
	v_lshlrev_b32_e32 v54, 2, v17
	v_lshlrev_b32_e32 v1, 3, v1
	v_mul_lo_u16 v6, v58, 13
	v_lshlrev_b32_e32 v4, 3, v4
	v_and_b32_e32 v58, 0xffff, v58
	v_mad_u32_u24 v17, 0xd0, v71, 0
	s_clause 0x1
	global_load_dwordx4 v[8:11], v1, s[8:9]
	global_load_dwordx2 v[61:62], v1, s[8:9] offset:16
	v_sub_nc_u16 v70, v0, v6
	v_mul_u32_u24_sdwa v6, v69, v5 dst_sel:DWORD dst_unused:UNUSED_PAD src0_sel:BYTE_0 src1_sel:DWORD
	s_clause 0x1
	global_load_dwordx4 v[0:3], v4, s[8:9]
	global_load_dwordx2 v[63:64], v4, s[8:9] offset:16
	v_mad_u32_u24 v71, 0xd0, v58, 0
	v_mad_u32_u24 v57, 0xd0, v57, 0
	v_mul_u32_u24_sdwa v4, v70, v5 dst_sel:DWORD dst_unused:UNUSED_PAD src0_sel:BYTE_0 src1_sel:DWORD
	v_lshlrev_b32_e32 v5, 3, v6
	v_and_b32_e32 v55, 0xff, v55
	v_lshlrev_b32_e32 v60, 3, v4
	s_clause 0x3
	global_load_dwordx4 v[12:15], v5, s[8:9]
	global_load_dwordx2 v[65:66], v5, s[8:9] offset:16
	global_load_dwordx4 v[4:7], v60, s[8:9]
	global_load_dwordx2 v[67:68], v60, s[8:9] offset:16
	v_mov_b32_e32 v60, 2
	s_waitcnt vmcnt(0) lgkmcnt(0)
	s_barrier
	buffer_gl0_inv
	v_lshlrev_b32_sdwa v56, v60, v56 dst_sel:DWORD dst_unused:UNUSED_PAD src0_sel:DWORD src1_sel:BYTE_0
	v_lshlrev_b32_sdwa v70, v60, v70 dst_sel:DWORD dst_unused:UNUSED_PAD src0_sel:DWORD src1_sel:BYTE_0
	;; [unrolled: 1-line block ×3, first 2 shown]
	v_add3_u32 v58, v17, v56, v54
	v_add3_u32 v56, v71, v70, v54
	;; [unrolled: 1-line block ×3, first 2 shown]
	v_mul_f32_e32 v17, v46, v9
	v_mul_f32_e32 v9, v32, v9
	;; [unrolled: 1-line block ×9, first 2 shown]
	v_fmac_f32_e32 v17, v32, v8
	v_fma_f32 v46, v46, v8, -v9
	v_fmac_f32_e32 v70, v30, v61
	v_fma_f32 v8, v38, v61, -v62
	v_mul_f32_e32 v30, v47, v13
	v_mul_f32_e32 v9, v33, v13
	;; [unrolled: 1-line block ×5, first 2 shown]
	v_fmac_f32_e32 v73, v25, v63
	v_fma_f32 v25, v43, v63, -v64
	v_mul_f32_e32 v62, v41, v7
	v_mul_f32_e32 v63, v59, v68
	;; [unrolled: 1-line block ×3, first 2 shown]
	v_fmac_f32_e32 v69, v23, v10
	v_mul_f32_e32 v38, v31, v66
	v_mul_f32_e32 v5, v22, v5
	;; [unrolled: 1-line block ×3, first 2 shown]
	v_fmac_f32_e32 v71, v27, v0
	v_fmac_f32_e32 v72, v24, v2
	;; [unrolled: 1-line block ×8, first 2 shown]
	v_fma_f32 v1, v35, v0, -v1
	v_fma_f32 v47, v47, v12, -v9
	;; [unrolled: 1-line block ×5, first 2 shown]
	v_sub_f32_e32 v12, v50, v69
	v_sub_f32_e32 v22, v17, v70
	v_sub_f32_e32 v51, v46, v8
	v_sub_f32_e32 v27, v26, v72
	v_sub_f32_e32 v0, v71, v73
	v_sub_f32_e32 v13, v28, v13
	v_sub_f32_e32 v33, v30, v32
	v_sub_f32_e32 v39, v29, v62
	v_sub_f32_e32 v35, v61, v63
	v_sub_f32_e32 v43, v1, v25
	v_fma_f32 v25, v50, 2.0, -v12
	v_fma_f32 v8, v17, 2.0, -v22
	v_add_f32_e32 v4, v12, v51
	v_sub_f32_e32 v59, v47, v9
	v_sub_f32_e32 v50, v44, v5
	v_fma_f32 v5, v26, 2.0, -v27
	v_fma_f32 v17, v71, 2.0, -v0
	v_fma_f32 v62, v28, 2.0, -v13
	v_fma_f32 v26, v30, 2.0, -v33
	v_fma_f32 v63, v29, 2.0, -v39
	v_fma_f32 v28, v61, 2.0, -v35
	v_add_f32_e32 v38, v27, v43
	v_sub_f32_e32 v9, v25, v8
	v_fma_f32 v8, v12, 2.0, -v4
	v_add_f32_e32 v12, v13, v59
	v_add_f32_e32 v29, v39, v50
	v_sub_f32_e32 v32, v5, v17
	v_sub_f32_e32 v26, v62, v26
	;; [unrolled: 1-line block ×3, first 2 shown]
	v_fma_f32 v31, v27, 2.0, -v38
	v_fma_f32 v17, v25, 2.0, -v9
	;; [unrolled: 1-line block ×7, first 2 shown]
	ds_write2_b32 v58, v9, v4 offset0:26 offset1:39
	ds_write2_b32 v58, v17, v8 offset1:13
	ds_write2_b32 v57, v26, v12 offset0:26 offset1:39
	ds_write2_b32 v57, v5, v25 offset1:13
	ds_write2_b32 v56, v13, v27 offset1:13
	ds_write2_b32 v56, v28, v29 offset0:26 offset1:39
	s_and_saveexec_b32 s1, s0
	s_cbranch_execz .LBB0_16
; %bb.15:
	v_mul_lo_u16 v39, 0x4f, v55
	v_lshlrev_b32_sdwa v60, v60, v53 dst_sel:DWORD dst_unused:UNUSED_PAD src0_sel:DWORD src1_sel:WORD_0
	v_lshrrev_b16 v39, 10, v39
	v_and_b32_e32 v39, 0xffff, v39
	v_mad_u32_u24 v39, 0xd0, v39, 0
	v_add3_u32 v39, v39, v60, v54
	ds_write2_b32 v39, v30, v31 offset1:13
	ds_write2_b32 v39, v32, v38 offset0:26 offset1:39
.LBB0_16:
	s_or_b32 exec_lo, exec_lo, s1
	v_cmp_gt_u32_e64 s1, 52, v16
	s_waitcnt lgkmcnt(0)
	s_barrier
	buffer_gl0_inv
	s_and_saveexec_b32 s4, s1
	s_cbranch_execz .LBB0_18
; %bb.17:
	v_add_nc_u32_e32 v12, 0x400, v48
	v_add_nc_u32_e32 v27, 0x600, v48
	;; [unrolled: 1-line block ×4, first 2 shown]
	ds_read_b32 v17, v49
	ds_read2_b32 v[8:9], v48 offset0:52 offset1:104
	ds_read2_b32 v[4:5], v48 offset0:156 offset1:208
	;; [unrolled: 1-line block ×8, first 2 shown]
.LBB0_18:
	s_or_b32 exec_lo, exec_lo, s4
	v_mul_f32_e32 v11, v23, v11
	v_mul_f32_e32 v15, v20, v15
	;; [unrolled: 1-line block ×4, first 2 shown]
	v_fma_f32 v20, v44, 2.0, -v50
	v_fma_f32 v10, v45, v10, -v11
	v_fma_f32 v11, v40, v14, -v15
	;; [unrolled: 1-line block ×4, first 2 shown]
	v_fma_f32 v14, v46, 2.0, -v51
	v_sub_f32_e32 v10, v52, v10
	v_sub_f32_e32 v23, v36, v11
	v_fma_f32 v15, v47, 2.0, -v59
	v_sub_f32_e32 v40, v34, v2
	v_fma_f32 v1, v1, 2.0, -v43
	v_fma_f32 v3, v52, 2.0, -v10
	;; [unrolled: 1-line block ×3, first 2 shown]
	v_sub_f32_e32 v36, v37, v6
	v_sub_f32_e32 v2, v10, v22
	s_waitcnt lgkmcnt(0)
	v_sub_f32_e32 v11, v3, v14
	v_sub_f32_e32 v7, v21, v15
	v_fma_f32 v15, v37, 2.0, -v36
	v_fma_f32 v37, v34, 2.0, -v40
	v_sub_f32_e32 v14, v23, v33
	v_fma_f32 v24, v3, 2.0, -v11
	v_fma_f32 v3, v21, 2.0, -v7
	v_sub_f32_e32 v21, v15, v20
	v_sub_f32_e32 v22, v36, v35
	;; [unrolled: 1-line block ×4, first 2 shown]
	v_fma_f32 v10, v10, 2.0, -v2
	v_fma_f32 v6, v23, 2.0, -v14
	;; [unrolled: 1-line block ×6, first 2 shown]
	s_barrier
	buffer_gl0_inv
	ds_write2_b32 v58, v24, v10 offset1:13
	ds_write2_b32 v58, v11, v2 offset0:26 offset1:39
	ds_write2_b32 v57, v3, v6 offset1:13
	ds_write2_b32 v57, v7, v14 offset0:26 offset1:39
	ds_write2_b32 v56, v15, v20 offset1:13
	ds_write2_b32 v56, v21, v22 offset0:26 offset1:39
	s_and_saveexec_b32 s4, s0
	s_cbranch_execz .LBB0_20
; %bb.19:
	v_mul_lo_u16 v0, 0x4f, v55
	v_mov_b32_e32 v1, 2
	v_lshrrev_b16 v0, 10, v0
	v_lshlrev_b32_sdwa v1, v1, v53 dst_sel:DWORD dst_unused:UNUSED_PAD src0_sel:DWORD src1_sel:WORD_0
	v_and_b32_e32 v0, 0xffff, v0
	v_mad_u32_u24 v0, 0xd0, v0, 0
	v_add3_u32 v0, v0, v1, v54
	ds_write2_b32 v0, v23, v33 offset1:13
	ds_write2_b32 v0, v34, v35 offset0:26 offset1:39
.LBB0_20:
	s_or_b32 exec_lo, exec_lo, s4
	s_waitcnt lgkmcnt(0)
	s_barrier
	buffer_gl0_inv
	s_and_saveexec_b32 s0, s1
	s_cbranch_execnz .LBB0_23
; %bb.21:
	s_or_b32 exec_lo, exec_lo, s0
	s_and_b32 s0, vcc_lo, s1
	s_and_saveexec_b32 s1, s0
	s_cbranch_execnz .LBB0_24
.LBB0_22:
	s_endpgm
.LBB0_23:
	v_add_nc_u32_e32 v0, 0x400, v48
	v_add_nc_u32_e32 v1, 0x600, v48
	;; [unrolled: 1-line block ×4, first 2 shown]
	ds_read_b32 v24, v49
	ds_read2_b32 v[10:11], v48 offset0:52 offset1:104
	ds_read2_b32 v[2:3], v48 offset0:156 offset1:208
	;; [unrolled: 1-line block ×8, first 2 shown]
	s_or_b32 exec_lo, exec_lo, s0
	s_and_b32 s0, vcc_lo, s1
	s_and_saveexec_b32 s1, s0
	s_cbranch_execz .LBB0_22
.LBB0_24:
	v_lshlrev_b32_e32 v0, 4, v16
	v_mov_b32_e32 v1, 0
	v_lshlrev_b64 v[40:41], 3, v[0:1]
	v_add_co_u32 v45, vcc_lo, s8, v40
	v_add_co_ci_u32_e32 v46, vcc_lo, s9, v41, vcc_lo
	s_clause 0x7
	global_load_dwordx4 v[41:44], v[45:46], off offset:424
	global_load_dwordx4 v[59:62], v[45:46], off offset:312
	;; [unrolled: 1-line block ×8, first 2 shown]
	s_waitcnt vmcnt(7) lgkmcnt(0)
	v_mul_f32_e32 v0, v36, v44
	s_waitcnt vmcnt(6)
	v_mul_f32_e32 v46, v10, v60
	v_mul_f32_e32 v37, v35, v42
	;; [unrolled: 1-line block ×6, first 2 shown]
	s_waitcnt vmcnt(4)
	v_mul_f32_e32 v62, v32, v71
	v_fmac_f32_e32 v0, v39, v43
	v_fmac_f32_e32 v46, v8, v59
	v_mul_f32_e32 v54, v38, v42
	v_mul_f32_e32 v40, v34, v71
	s_waitcnt vmcnt(2)
	v_mul_f32_e32 v50, v22, v77
	v_mul_f32_e32 v77, v29, v77
	s_waitcnt vmcnt(0)
	v_mul_f32_e32 v53, v21, v87
	v_mul_f32_e32 v87, v28, v87
	v_fmac_f32_e32 v37, v38, v41
	v_fma_f32 v48, v36, v43, -v48
	v_fmac_f32_e32 v45, v9, v61
	v_fma_f32 v71, v10, v59, -v56
	v_fma_f32 v56, v34, v70, -v62
	v_sub_f32_e32 v34, v46, v0
	v_mul_f32_e32 v49, v3, v66
	v_mul_f32_e32 v42, v33, v69
	;; [unrolled: 1-line block ×8, first 2 shown]
	v_fma_f32 v54, v35, v41, -v54
	v_fma_f32 v69, v11, v61, -v60
	v_fmac_f32_e32 v50, v29, v76
	v_fma_f32 v61, v22, v76, -v77
	v_fmac_f32_e32 v53, v28, v86
	v_fma_f32 v62, v21, v86, -v87
	v_add_f32_e32 v87, v71, v48
	v_sub_f32_e32 v28, v45, v37
	v_sub_f32_e32 v76, v71, v48
	v_mul_f32_e32 v103, 0xbf65296c, v34
	v_mul_f32_e32 v47, v2, v64
	v_mul_f32_e32 v64, v4, v64
	v_mul_f32_e32 v57, v20, v85
	v_mul_f32_e32 v85, v27, v85
	v_fmac_f32_e32 v42, v31, v68
	v_fma_f32 v59, v33, v68, -v67
	v_fma_f32 v68, v3, v65, -v66
	;; [unrolled: 1-line block ×4, first 2 shown]
	v_add_f32_e32 v86, v69, v54
	v_add_f32_e32 v33, v46, v0
	v_sub_f32_e32 v75, v69, v54
	v_mul_f32_e32 v101, 0xbf4c4adb, v28
	v_mul_f32_e32 v102, 0xbf65296c, v76
	;; [unrolled: 1-line block ×3, first 2 shown]
	v_fmamk_f32 v141, v87, 0x3ee437d1, v103
	v_fmac_f32_e32 v40, v32, v70
	v_fmac_f32_e32 v47, v4, v63
	v_fma_f32 v70, v2, v63, -v64
	v_fma_f32 v63, v20, v84, -v85
	v_add_f32_e32 v32, v45, v37
	v_mul_f32_e32 v100, 0xbf4c4adb, v75
	v_mul_f32_e32 v20, 0xbe3c28d5, v28
	;; [unrolled: 1-line block ×4, first 2 shown]
	v_fma_f32 v142, 0x3ee437d1, v33, -v102
	v_fmamk_f32 v143, v86, 0xbf1a4643, v101
	v_fmamk_f32 v146, v87, 0x3dbcf732, v23
	v_add_f32_e32 v141, v24, v141
	v_mul_f32_e32 v58, v15, v83
	v_mul_f32_e32 v111, 0xbe3c28d5, v75
	;; [unrolled: 1-line block ×4, first 2 shown]
	v_fma_f32 v145, 0xbf1a4643, v32, -v100
	v_fmamk_f32 v147, v86, 0xbf7ba420, v20
	v_fma_f32 v148, 0x3dbcf732, v33, -v22
	v_add_f32_e32 v142, v17, v142
	v_add_f32_e32 v146, v24, v146
	;; [unrolled: 1-line block ×3, first 2 shown]
	v_fmamk_f32 v143, v87, 0xbf59a7d5, v2
	v_mul_f32_e32 v83, v13, v83
	v_fmac_f32_e32 v49, v5, v65
	v_fmac_f32_e32 v58, v13, v82
	v_mul_f32_e32 v5, 0x3f65296c, v75
	v_mul_f32_e32 v13, 0xbe3c28d5, v76
	v_fma_f32 v149, 0xbf7ba420, v32, -v111
	v_add_f32_e32 v142, v142, v145
	v_fmamk_f32 v145, v86, 0x3ee437d1, v3
	v_add_f32_e32 v148, v17, v148
	v_add_f32_e32 v146, v146, v147
	v_fma_f32 v147, 0xbf59a7d5, v33, -v4
	v_add_f32_e32 v143, v24, v143
	v_fmac_f32_e32 v57, v27, v84
	v_sub_f32_e32 v27, v47, v40
	v_mul_f32_e32 v134, 0x3eb8f4ab, v75
	v_add_f32_e32 v148, v148, v149
	v_fma_f32 v149, 0x3ee437d1, v32, -v5
	v_add_f32_e32 v147, v17, v147
	v_add_f32_e32 v143, v143, v145
	v_fma_f32 v145, 0xbf7ba420, v33, -v13
	v_fmac_f32_e32 v13, 0xbf7ba420, v33
	v_fmac_f32_e32 v52, v26, v74
	v_add_f32_e32 v85, v70, v56
	v_sub_f32_e32 v74, v70, v56
	v_mul_f32_e32 v99, 0x3e3c28d5, v27
	v_add_f32_e32 v147, v147, v149
	v_fma_f32 v149, 0x3f6eb680, v32, -v134
	v_fmac_f32_e32 v134, 0x3f6eb680, v32
	v_add_f32_e32 v13, v17, v13
	v_mul_f32_e32 v51, v6, v73
	v_mul_f32_e32 v73, v25, v73
	v_add_f32_e32 v31, v47, v40
	v_mul_f32_e32 v110, 0x3f763a35, v74
	v_mul_f32_e32 v130, 0xbf763a35, v34
	v_fma_f32 v2, 0xbf59a7d5, v87, -v2
	v_add_f32_e32 v13, v13, v134
	v_fmamk_f32 v134, v85, 0xbf7ba420, v99
	v_fma_f32 v67, v6, v72, -v73
	v_mul_f32_e32 v98, 0x3e3c28d5, v74
	v_mul_f32_e32 v21, 0x3f06c442, v28
	v_mul_f32_e32 v6, 0xbf7ee86f, v27
	v_fmamk_f32 v150, v87, 0xbe8c1d8e, v130
	v_fma_f32 v3, 0x3ee437d1, v86, -v3
	v_add_f32_e32 v2, v24, v2
	v_add_f32_e32 v134, v141, v134
	v_fma_f32 v141, 0xbe8c1d8e, v31, -v110
	v_sub_f32_e32 v26, v49, v42
	v_mul_f32_e32 v129, 0x3f2c7751, v27
	v_mul_f32_e32 v137, 0xbf06c442, v74
	v_fmamk_f32 v151, v86, 0xbf59a7d5, v21
	v_add_f32_e32 v150, v24, v150
	v_fmac_f32_e32 v4, 0xbf59a7d5, v33
	v_add_f32_e32 v2, v2, v3
	v_fma_f32 v3, 0xbf7ba420, v31, -v98
	v_add_f32_e32 v141, v148, v141
	v_fmamk_f32 v148, v85, 0x3dbcf732, v6
	v_add_f32_e32 v84, v68, v59
	v_sub_f32_e32 v73, v68, v59
	v_mul_f32_e32 v97, 0x3f763a35, v26
	v_mul_f32_e32 v131, 0xbf763a35, v76
	;; [unrolled: 1-line block ×3, first 2 shown]
	v_add_f32_e32 v150, v150, v151
	v_fmac_f32_e32 v5, 0x3ee437d1, v32
	v_add_f32_e32 v4, v17, v4
	v_add_f32_e32 v3, v142, v3
	v_fmamk_f32 v142, v85, 0x3f3d2fb0, v129
	v_add_f32_e32 v143, v143, v148
	v_fma_f32 v148, 0xbf59a7d5, v31, -v137
	v_fmac_f32_e32 v137, 0xbf59a7d5, v31
	v_mul_f32_e32 v55, v14, v81
	v_fmac_f32_e32 v51, v25, v72
	v_fmac_f32_e32 v44, v30, v78
	v_add_f32_e32 v30, v49, v42
	v_mul_f32_e32 v115, 0x3f763a35, v27
	v_mul_f32_e32 v109, 0x3eb8f4ab, v73
	;; [unrolled: 1-line block ×4, first 2 shown]
	v_fma_f32 v152, 0xbe8c1d8e, v33, -v131
	v_add_f32_e32 v4, v4, v5
	v_add_f32_e32 v142, v150, v142
	v_fma_f32 v150, 0x3dbcf732, v31, -v7
	v_fmac_f32_e32 v7, 0x3dbcf732, v31
	v_add_f32_e32 v13, v13, v137
	v_fmamk_f32 v137, v84, 0xbe8c1d8e, v97
	v_mul_f32_e32 v81, v12, v81
	v_fmac_f32_e32 v55, v12, v80
	v_sub_f32_e32 v25, v51, v44
	v_mul_f32_e32 v96, 0x3f763a35, v73
	v_mul_f32_e32 v126, 0x3f2c7751, v74
	;; [unrolled: 1-line block ×4, first 2 shown]
	v_fma_f32 v153, 0xbf59a7d5, v32, -v127
	v_add_f32_e32 v152, v17, v152
	v_fmamk_f32 v151, v87, 0xbf7ba420, v10
	v_fma_f32 v10, 0xbf7ba420, v87, -v10
	v_fmamk_f32 v5, v85, 0xbe8c1d8e, v115
	v_fma_f32 v6, 0x3dbcf732, v85, -v6
	v_add_f32_e32 v154, v4, v7
	v_add_f32_e32 v7, v134, v137
	v_fma_f32 v134, 0x3f6eb680, v30, -v109
	v_add_f32_e32 v77, v67, v60
	v_sub_f32_e32 v72, v67, v60
	v_mul_f32_e32 v95, 0x3f2c7751, v25
	v_mul_f32_e32 v128, 0xbf65296c, v26
	v_mul_f32_e32 v135, 0xbf06c442, v27
	v_add_f32_e32 v152, v152, v153
	v_fmamk_f32 v153, v86, 0x3f6eb680, v11
	v_fma_f32 v11, 0x3f6eb680, v86, -v11
	v_add_f32_e32 v10, v24, v10
	v_add_f32_e32 v5, v146, v5
	v_fma_f32 v146, 0x3f3d2fb0, v31, -v126
	v_add_f32_e32 v147, v147, v150
	v_add_f32_e32 v2, v2, v6
	v_fma_f32 v6, 0xbe8c1d8e, v30, -v96
	v_add_f32_e32 v134, v141, v134
	v_fma_f32 v141, 0xbf1a4643, v30, -v12
	v_add_f32_e32 v29, v51, v44
	v_sub_f32_e32 v35, v52, v50
	v_mul_f32_e32 v116, 0x3eb8f4ab, v26
	v_mul_f32_e32 v108, 0xbf65296c, v72
	;; [unrolled: 1-line block ×4, first 2 shown]
	v_add_f32_e32 v10, v10, v11
	v_add_f32_e32 v146, v152, v146
	v_fmamk_f32 v152, v85, 0xbf59a7d5, v135
	v_fma_f32 v135, 0xbf59a7d5, v85, -v135
	v_add_f32_e32 v3, v3, v6
	v_fmamk_f32 v6, v84, 0x3ee437d1, v128
	v_add_f32_e32 v141, v147, v141
	v_fmamk_f32 v147, v77, 0x3f3d2fb0, v95
	v_fma_f32 v23, 0x3dbcf732, v87, -v23
	v_fma_f32 v65, v14, v80, -v81
	;; [unrolled: 1-line block ×3, first 2 shown]
	v_add_f32_e32 v83, v66, v61
	v_sub_f32_e32 v36, v55, v53
	v_mul_f32_e32 v94, 0xbeb8f4ab, v35
	v_mul_f32_e32 v119, 0xbf65296c, v73
	;; [unrolled: 1-line block ×3, first 2 shown]
	v_add_f32_e32 v145, v17, v145
	v_add_f32_e32 v10, v10, v135
	v_fmamk_f32 v4, v84, 0x3f6eb680, v116
	v_fmamk_f32 v137, v84, 0xbf1a4643, v8
	v_add_f32_e32 v6, v142, v6
	v_fmamk_f32 v142, v84, 0x3f3d2fb0, v139
	v_fma_f32 v139, 0x3f3d2fb0, v84, -v139
	v_add_f32_e32 v7, v7, v147
	v_fma_f32 v147, 0x3ee437d1, v29, -v108
	v_add_f32_e32 v23, v24, v23
	;; [unrolled: 2-line block ×3, first 2 shown]
	v_sub_f32_e32 v39, v58, v57
	v_mul_f32_e32 v92, 0xbf7ee86f, v36
	v_mul_f32_e32 v140, 0x3f2c7751, v73
	v_add_f32_e32 v145, v145, v149
	v_add_f32_e32 v4, v5, v4
	v_fma_f32 v5, 0x3ee437d1, v30, -v119
	v_add_f32_e32 v137, v143, v137
	v_add_f32_e32 v10, v10, v139
	v_fmamk_f32 v139, v83, 0x3f6eb680, v94
	v_add_f32_e32 v134, v134, v147
	v_fmamk_f32 v147, v77, 0x3f6eb680, v9
	v_add_f32_e32 v20, v23, v20
	v_fma_f32 v23, 0xbe8c1d8e, v85, -v115
	v_add_f32_e32 v80, v64, v63
	v_mul_f32_e32 v93, 0x3f2c7751, v72
	v_mul_f32_e32 v118, 0xbf4c4adb, v39
	v_add_f32_e32 v145, v145, v148
	v_add_f32_e32 v5, v146, v5
	v_fma_f32 v146, 0x3f3d2fb0, v30, -v140
	v_add_f32_e32 v137, v137, v147
	v_fmamk_f32 v147, v82, 0x3dbcf732, v92
	v_add_f32_e32 v7, v7, v139
	v_add_f32_e32 v23, v20, v23
	v_fma_f32 v116, 0x3f6eb680, v84, -v116
	v_fmac_f32_e32 v22, 0x3dbcf732, v33
	v_fma_f32 v103, 0x3ee437d1, v87, -v103
	v_fmac_f32_e32 v102, 0x3ee437d1, v33
	v_mul_f32_e32 v114, 0xbf65296c, v25
	v_mul_f32_e32 v123, 0xbe3c28d5, v25
	v_add_f32_e32 v151, v24, v151
	v_add_f32_e32 v145, v145, v146
	v_fma_f32 v146, 0x3f3d2fb0, v29, -v93
	v_fma_f32 v8, 0xbf1a4643, v84, -v8
	v_add_f32_e32 v7, v7, v147
	v_fmamk_f32 v147, v80, 0xbf1a4643, v118
	v_add_f32_e32 v23, v23, v116
	v_fma_f32 v116, 0xbf1a4643, v80, -v118
	v_add_f32_e32 v118, v17, v22
	v_fmac_f32_e32 v111, 0xbf7ba420, v32
	v_add_f32_e32 v103, v24, v103
	v_fma_f32 v101, 0xbf1a4643, v86, -v101
	v_add_f32_e32 v102, v17, v102
	v_fmac_f32_e32 v100, 0xbf1a4643, v32
	v_sub_f32_e32 v78, v66, v61
	v_mul_f32_e32 v120, 0xbe3c28d5, v72
	v_mul_f32_e32 v15, 0xbeb8f4ab, v72
	v_add_f32_e32 v151, v151, v153
	v_add_f32_e32 v2, v2, v8
	v_fmamk_f32 v8, v77, 0x3ee437d1, v114
	v_add_f32_e32 v3, v3, v146
	v_fmamk_f32 v146, v77, 0xbf7ba420, v123
	v_add_f32_e32 v111, v118, v111
	v_fmac_f32_e32 v110, 0xbe8c1d8e, v31
	v_add_f32_e32 v101, v103, v101
	v_fma_f32 v99, 0xbf7ba420, v85, -v99
	v_add_f32_e32 v100, v102, v100
	v_fmac_f32_e32 v98, 0xbf7ba420, v31
	v_add_f32_e32 v38, v52, v50
	v_mul_f32_e32 v107, 0xbf06c442, v78
	v_mul_f32_e32 v124, 0x3f7ee86f, v35
	;; [unrolled: 1-line block ×4, first 2 shown]
	v_add_f32_e32 v151, v151, v152
	v_fmac_f32_e32 v140, 0x3f3d2fb0, v30
	v_add_f32_e32 v4, v4, v8
	v_fma_f32 v8, 0xbf7ba420, v29, -v120
	v_add_f32_e32 v6, v6, v146
	v_fma_f32 v146, 0x3f6eb680, v29, -v15
	v_fma_f32 v9, 0x3f6eb680, v77, -v9
	v_add_f32_e32 v110, v111, v110
	v_fmac_f32_e32 v109, 0x3f6eb680, v30
	v_add_f32_e32 v99, v101, v99
	v_fma_f32 v97, 0xbe8c1d8e, v84, -v97
	v_add_f32_e32 v98, v100, v98
	v_fmac_f32_e32 v96, 0xbe8c1d8e, v30
	v_sub_f32_e32 v79, v65, v62
	v_mul_f32_e32 v91, 0xbeb8f4ab, v78
	v_mul_f32_e32 v113, 0xbf06c442, v35
	;; [unrolled: 1-line block ×4, first 2 shown]
	v_add_f32_e32 v142, v151, v142
	v_add_f32_e32 v13, v13, v140
	v_add_f32_e32 v5, v5, v8
	v_fmamk_f32 v8, v77, 0xbf1a4643, v153
	v_add_f32_e32 v141, v141, v146
	v_fma_f32 v146, 0xbf1a4643, v29, -v149
	v_fma_f32 v151, 0xbf1a4643, v77, -v153
	v_fmac_f32_e32 v149, 0xbf1a4643, v29
	v_add_f32_e32 v153, v2, v9
	v_fma_f32 v2, 0xbf59a7d5, v38, -v107
	v_fmamk_f32 v139, v83, 0x3dbcf732, v124
	v_fma_f32 v114, 0x3ee437d1, v77, -v114
	v_add_f32_e32 v109, v110, v109
	v_fmac_f32_e32 v108, 0x3ee437d1, v29
	v_add_f32_e32 v97, v99, v97
	v_fma_f32 v95, 0x3f3d2fb0, v77, -v95
	v_add_f32_e32 v96, v98, v96
	v_fmac_f32_e32 v93, 0x3f3d2fb0, v29
	v_add_f32_e32 v43, v55, v53
	v_sub_f32_e32 v81, v64, v63
	v_mul_f32_e32 v90, 0xbf7ee86f, v79
	v_mul_f32_e32 v112, 0x3f4c4adb, v36
	;; [unrolled: 1-line block ×4, first 2 shown]
	v_fma_f32 v140, 0x3f6eb680, v38, -v91
	v_add_f32_e32 v13, v13, v149
	v_fmamk_f32 v149, v83, 0xbf59a7d5, v113
	v_add_f32_e32 v2, v134, v2
	v_fmamk_f32 v134, v83, 0xbf7ba420, v133
	v_add_f32_e32 v6, v6, v139
	v_fma_f32 v139, 0xbf7ba420, v38, -v14
	v_add_f32_e32 v114, v23, v114
	v_fma_f32 v113, 0xbf59a7d5, v83, -v113
	v_add_f32_e32 v102, v109, v108
	v_fmac_f32_e32 v107, 0xbf59a7d5, v38
	v_add_f32_e32 v95, v97, v95
	v_fma_f32 v94, 0x3f6eb680, v83, -v94
	v_add_f32_e32 v93, v96, v93
	v_fmac_f32_e32 v91, 0x3f6eb680, v38
	v_add_f32_e32 v41, v58, v57
	v_mul_f32_e32 v105, 0x3f2c7751, v39
	v_mul_f32_e32 v104, 0x3f2c7751, v81
	v_add_f32_e32 v8, v142, v8
	v_fma_f32 v142, 0x3dbcf732, v43, -v90
	v_add_f32_e32 v145, v145, v146
	v_fmamk_f32 v9, v82, 0xbf1a4643, v112
	v_add_f32_e32 v134, v137, v134
	v_fma_f32 v137, 0xbf1a4643, v43, -v106
	v_add_f32_e32 v139, v141, v139
	v_fma_f32 v141, 0x3ee437d1, v38, -v150
	;; [unrolled: 2-line block ×3, first 2 shown]
	v_add_f32_e32 v100, v102, v107
	v_fmac_f32_e32 v106, 0xbf1a4643, v43
	v_add_f32_e32 v94, v95, v94
	v_fma_f32 v95, 0x3dbcf732, v82, -v92
	v_add_f32_e32 v93, v93, v91
	v_fmac_f32_e32 v90, 0x3dbcf732, v43
	v_mul_f32_e32 v97, 0x3f3d2fb0, v87
	v_mul_f32_e32 v89, 0xbf06c442, v39
	v_add_f32_e32 v141, v145, v141
	v_fma_f32 v145, 0x3f3d2fb0, v41, -v104
	v_add_f32_e32 v98, v113, v112
	v_add_f32_e32 v99, v100, v106
	v_fma_f32 v96, 0x3f3d2fb0, v80, -v105
	v_fmac_f32_e32 v104, 0x3f3d2fb0, v41
	v_add_f32_e32 v94, v94, v95
	v_add_f32_e32 v90, v93, v90
	v_fmamk_f32 v93, v34, 0x3f2c7751, v97
	v_mul_f32_e32 v95, 0x3dbcf732, v86
	v_mul_f32_e32 v121, 0x3f7ee86f, v78
	v_fmamk_f32 v146, v80, 0xbf59a7d5, v89
	v_add_f32_e32 v92, v98, v96
	v_add_f32_e32 v91, v99, v104
	v_fma_f32 v89, 0xbf59a7d5, v80, -v89
	v_mul_f32_e32 v96, 0xbf2c7751, v76
	v_add_f32_e32 v93, v24, v93
	v_fmamk_f32 v98, v28, 0x3f7ee86f, v95
	v_mul_f32_e32 v99, 0xbf1a4643, v85
	v_add_f32_e32 v71, v24, v71
	v_mul_f32_e32 v11, 0x3f65296c, v35
	v_add_f32_e32 v3, v3, v140
	v_fma_f32 v140, 0x3dbcf732, v38, -v121
	v_add_f32_e32 v89, v94, v89
	v_fmamk_f32 v94, v33, 0x3f3d2fb0, v96
	v_mul_f32_e32 v100, 0xbf7ee86f, v75
	v_add_f32_e32 v93, v93, v98
	v_fmamk_f32 v98, v27, 0x3f4c4adb, v99
	v_mul_f32_e32 v101, 0xbf7ba420, v84
	v_add_f32_e32 v46, v17, v46
	v_add_f32_e32 v69, v71, v69
	v_mul_f32_e32 v122, 0xbeb8f4ab, v79
	v_mul_f32_e32 v132, 0x3f2c7751, v36
	v_add_f32_e32 v5, v5, v140
	v_fmamk_f32 v140, v83, 0x3ee437d1, v11
	v_add_f32_e32 v94, v17, v94
	v_fmamk_f32 v102, v32, 0x3dbcf732, v100
	v_mul_f32_e32 v103, 0xbf4c4adb, v74
	v_add_f32_e32 v93, v93, v98
	v_fmamk_f32 v98, v26, 0x3e3c28d5, v101
	v_mul_f32_e32 v104, 0xbf59a7d5, v77
	v_add_f32_e32 v45, v46, v45
	v_add_f32_e32 v46, v69, v70
	v_mul_f32_e32 v88, 0xbf06c442, v81
	v_mul_f32_e32 v125, 0xbeb8f4ab, v36
	;; [unrolled: 1-line block ×5, first 2 shown]
	v_add_f32_e32 v10, v10, v151
	v_add_f32_e32 v4, v4, v149
	v_fma_f32 v11, 0x3ee437d1, v83, -v11
	v_add_f32_e32 v8, v8, v140
	v_fmamk_f32 v140, v80, 0x3f3d2fb0, v105
	v_fma_f32 v149, 0x3f6eb680, v43, -v122
	v_add_f32_e32 v142, v3, v142
	v_fmamk_f32 v3, v82, 0x3f3d2fb0, v132
	v_add_f32_e32 v94, v94, v102
	v_fmamk_f32 v102, v31, 0xbf1a4643, v103
	v_mul_f32_e32 v105, 0xbe3c28d5, v73
	v_add_f32_e32 v93, v93, v98
	v_fmamk_f32 v98, v25, 0xbf06c442, v104
	v_mul_f32_e32 v106, 0xbe8c1d8e, v83
	v_add_f32_e32 v45, v45, v47
	v_add_f32_e32 v46, v46, v68
	v_mul_f32_e32 v117, 0xbf4c4adb, v81
	v_mul_f32_e32 v135, 0x3f7ee86f, v39
	v_fma_f32 v151, 0xbf59a7d5, v41, -v88
	v_fmac_f32_e32 v150, 0x3ee437d1, v38
	v_add_f32_e32 v10, v10, v11
	v_fmamk_f32 v11, v82, 0x3f6eb680, v125
	v_add_f32_e32 v4, v4, v9
	v_add_f32_e32 v9, v2, v137
	;; [unrolled: 1-line block ×3, first 2 shown]
	v_fma_f32 v5, 0xbe8c1d8e, v43, -v148
	v_add_f32_e32 v134, v134, v3
	v_fmamk_f32 v149, v80, 0xbe8c1d8e, v138
	v_fma_f32 v3, 0xbe8c1d8e, v82, -v152
	v_fmac_f32_e32 v88, 0xbf59a7d5, v41
	v_add_f32_e32 v94, v94, v102
	v_fmamk_f32 v102, v30, 0xbf7ba420, v105
	v_mul_f32_e32 v107, 0x3f06c442, v72
	v_add_f32_e32 v93, v93, v98
	v_fmamk_f32 v98, v35, 0xbf763a35, v106
	v_add_f32_e32 v45, v45, v49
	v_add_f32_e32 v46, v46, v67
	;; [unrolled: 1-line block ×3, first 2 shown]
	v_fma_f32 v150, 0xbf1a4643, v41, -v117
	v_add_f32_e32 v6, v6, v11
	v_fmamk_f32 v155, v80, 0x3dbcf732, v135
	v_fmac_f32_e32 v148, 0xbe8c1d8e, v43
	v_add_f32_e32 v141, v141, v5
	v_fma_f32 v135, 0x3dbcf732, v80, -v135
	v_fmac_f32_e32 v12, 0xbf1a4643, v30
	v_add_f32_e32 v157, v10, v3
	v_add_f32_e32 v5, v4, v140
	;; [unrolled: 1-line block ×4, first 2 shown]
	v_mul_f32_e32 v134, 0xbf1a4643, v87
	v_fma_f32 v130, 0xbe8c1d8e, v87, -v130
	v_add_f32_e32 v88, v90, v88
	v_add_f32_e32 v90, v94, v102
	v_fmamk_f32 v94, v29, 0xbf59a7d5, v107
	v_mul_f32_e32 v102, 0x3f763a35, v78
	v_add_f32_e32 v93, v93, v98
	v_mul_f32_e32 v98, 0x3ee437d1, v82
	v_mul_f32_e32 v87, 0x3f6eb680, v87
	v_add_f32_e32 v45, v45, v51
	v_add_f32_e32 v46, v46, v66
	;; [unrolled: 1-line block ×7, first 2 shown]
	v_fma_f32 v133, 0xbf7ba420, v83, -v133
	v_add_f32_e32 v137, v154, v12
	v_fmac_f32_e32 v15, 0x3f6eb680, v29
	v_mul_f32_e32 v135, 0xbe8c1d8e, v86
	v_fma_f32 v21, 0xbf59a7d5, v86, -v21
	v_add_f32_e32 v90, v90, v94
	v_fmamk_f32 v94, v38, 0xbe8c1d8e, v102
	v_mul_f32_e32 v108, 0x3f65296c, v79
	v_fmamk_f32 v109, v36, 0xbf65296c, v98
	v_fmamk_f32 v110, v34, 0x3eb8f4ab, v87
	v_mul_f32_e32 v86, 0x3f3d2fb0, v86
	v_mul_f32_e32 v111, 0x3f6eb680, v80
	;; [unrolled: 1-line block ×3, first 2 shown]
	v_add_f32_e32 v45, v45, v52
	v_add_f32_e32 v46, v46, v65
	v_mul_f32_e32 v136, 0x3f2c7751, v79
	v_mul_f32_e32 v143, 0x3f7ee86f, v81
	v_add_f32_e32 v140, v153, v133
	v_add_f32_e32 v15, v137, v15
	v_fmac_f32_e32 v14, 0xbf7ba420, v38
	v_mul_f32_e32 v133, 0x3f6eb680, v85
	v_fma_f32 v129, 0x3f3d2fb0, v85, -v129
	v_add_f32_e32 v90, v90, v94
	v_fmamk_f32 v94, v43, 0x3ee437d1, v108
	v_add_f32_e32 v110, v24, v110
	v_fmamk_f32 v112, v28, 0x3f2c7751, v86
	v_mul_f32_e32 v113, 0x3ee437d1, v85
	v_add_f32_e32 v85, v93, v109
	v_fmamk_f32 v93, v39, 0xbeb8f4ab, v111
	v_fmamk_f32 v47, v33, 0x3f6eb680, v69
	v_mul_f32_e32 v68, 0xbf2c7751, v75
	v_add_f32_e32 v45, v45, v55
	v_add_f32_e32 v46, v46, v64
	v_fma_f32 v2, 0x3f3d2fb0, v43, -v136
	v_fma_f32 v156, 0x3dbcf732, v41, -v143
	v_add_f32_e32 v14, v15, v14
	v_fmac_f32_e32 v136, 0x3f3d2fb0, v43
	v_add_f32_e32 v90, v90, v94
	v_add_f32_e32 v94, v110, v112
	v_fmamk_f32 v109, v27, 0x3f65296c, v113
	v_mul_f32_e32 v110, 0x3dbcf732, v84
	v_add_f32_e32 v85, v85, v93
	v_mul_f32_e32 v93, 0x3eb8f4ab, v81
	v_add_f32_e32 v47, v17, v47
	v_fmamk_f32 v49, v32, 0x3f3d2fb0, v68
	v_mul_f32_e32 v67, 0xbf65296c, v74
	v_add_f32_e32 v45, v45, v58
	v_add_f32_e32 v46, v46, v63
	v_mul_f32_e32 v144, 0xbf763a35, v81
	v_add_f32_e32 v10, v141, v156
	v_fma_f32 v141, 0x3f3d2fb0, v82, -v132
	v_mul_f32_e32 v132, 0xbf59a7d5, v84
	v_add_f32_e32 v14, v14, v136
	v_mul_f32_e32 v136, 0x3dbcf732, v77
	v_fma_f32 v128, 0x3ee437d1, v84, -v128
	v_fma_f32 v123, 0xbf7ba420, v77, -v123
	v_add_f32_e32 v84, v94, v109
	v_fmamk_f32 v94, v26, 0x3f7ee86f, v110
	v_mul_f32_e32 v77, 0xbe8c1d8e, v77
	v_fmamk_f32 v71, v41, 0x3f6eb680, v93
	v_add_f32_e32 v47, v47, v49
	v_fmamk_f32 v49, v31, 0x3ee437d1, v67
	v_mul_f32_e32 v52, 0xbf7ee86f, v73
	v_add_f32_e32 v45, v45, v57
	v_add_f32_e32 v46, v62, v46
	v_fmamk_f32 v11, v82, 0xbe8c1d8e, v152
	v_add_f32_e32 v139, v139, v2
	v_fma_f32 v152, 0xbe8c1d8e, v41, -v144
	v_add_f32_e32 v94, v84, v94
	v_fmamk_f32 v109, v25, 0x3f763a35, v77
	v_add_f32_e32 v84, v90, v71
	v_mul_f32_e32 v71, 0xbf1a4643, v83
	v_add_f32_e32 v47, v47, v49
	v_fmamk_f32 v49, v30, 0x3dbcf732, v52
	v_mul_f32_e32 v55, 0xbf763a35, v72
	v_add_f32_e32 v45, v53, v45
	v_add_f32_e32 v46, v61, v46
	;; [unrolled: 1-line block ×4, first 2 shown]
	v_fmamk_f32 v139, v34, 0x3f4c4adb, v134
	v_add_f32_e32 v70, v94, v109
	v_fmamk_f32 v51, v35, 0x3f4c4adb, v71
	v_mul_f32_e32 v64, 0xbf59a7d5, v82
	v_add_f32_e32 v47, v47, v49
	v_fmamk_f32 v49, v29, 0xbe8c1d8e, v55
	v_mul_f32_e32 v58, 0xbf4c4adb, v78
	v_add_f32_e32 v45, v50, v45
	v_add_f32_e32 v46, v60, v46
	v_fmac_f32_e32 v143, 0x3dbcf732, v41
	v_add_f32_e32 v137, v24, v139
	v_fmamk_f32 v139, v28, 0xbf763a35, v135
	v_add_f32_e32 v51, v70, v51
	v_fmamk_f32 v57, v36, 0x3f06c442, v64
	v_add_f32_e32 v47, v47, v49
	v_fmamk_f32 v49, v38, 0xbf1a4643, v58
	v_mul_f32_e32 v53, 0xbf06c442, v79
	v_mul_f32_e32 v50, 0xbf7ba420, v80
	v_add_f32_e32 v44, v44, v45
	v_add_f32_e32 v45, v59, v46
	;; [unrolled: 1-line block ×4, first 2 shown]
	v_fmamk_f32 v137, v27, 0x3eb8f4ab, v133
	v_mul_f32_e32 v143, 0xbf4c4adb, v76
	v_add_f32_e32 v51, v51, v57
	v_add_f32_e32 v47, v47, v49
	v_fmamk_f32 v49, v43, 0xbf59a7d5, v53
	v_mul_f32_e32 v57, 0xbe3c28d5, v81
	v_fmamk_f32 v46, v39, 0x3e3c28d5, v50
	v_add_f32_e32 v42, v42, v44
	v_add_f32_e32 v56, v56, v45
	;; [unrolled: 1-line block ×3, first 2 shown]
	v_fmamk_f32 v137, v33, 0xbf1a4643, v143
	v_mul_f32_e32 v146, 0x3f763a35, v75
	v_add_f32_e32 v47, v47, v49
	v_fmamk_f32 v49, v41, 0xbf7ba420, v57
	v_add_f32_e32 v45, v51, v46
	v_fmac_f32_e32 v134, 0xbf4c4adb, v34
	v_add_f32_e32 v40, v40, v42
	v_add_f32_e32 v42, v54, v56
	v_fma_f32 v46, 0xbf1a4643, v33, -v143
	v_add_f32_e32 v2, v142, v151
	v_add_f32_e32 v142, v140, v141
	v_fma_f32 v145, 0xbe8c1d8e, v80, -v138
	v_fmamk_f32 v138, v26, 0x3f06c442, v132
	v_add_f32_e32 v140, v17, v137
	v_fmamk_f32 v141, v32, 0xbe8c1d8e, v146
	v_mul_f32_e32 v139, 0xbeb8f4ab, v74
	v_add_f32_e32 v44, v47, v49
	v_add_f32_e32 v49, v24, v134
	v_fmac_f32_e32 v135, 0x3f763a35, v28
	v_add_f32_e32 v37, v37, v40
	v_add_f32_e32 v47, v48, v42
	;; [unrolled: 1-line block ×3, first 2 shown]
	v_fma_f32 v42, 0xbe8c1d8e, v32, -v146
	v_add_f32_e32 v15, v15, v138
	v_fmamk_f32 v138, v25, 0xbf7ee86f, v136
	v_mul_f32_e32 v137, 0x3f3d2fb0, v83
	v_add_f32_e32 v141, v140, v141
	v_fmamk_f32 v147, v31, 0x3f6eb680, v139
	v_mul_f32_e32 v140, 0xbf06c442, v73
	v_add_f32_e32 v48, v49, v135
	v_fmac_f32_e32 v133, 0xbeb8f4ab, v27
	v_add_f32_e32 v46, v0, v37
	v_fmac_f32_e32 v97, 0xbf2c7751, v34
	v_add_f32_e32 v0, v40, v42
	v_fma_f32 v37, 0x3f6eb680, v31, -v139
	v_add_f32_e32 v148, v15, v138
	v_fmamk_f32 v149, v35, 0x3f2c7751, v137
	v_mul_f32_e32 v138, 0xbf7ba420, v82
	v_add_f32_e32 v147, v141, v147
	v_fmamk_f32 v150, v30, 0xbf59a7d5, v140
	v_mul_f32_e32 v141, 0x3f7ee86f, v72
	v_add_f32_e32 v40, v48, v133
	v_fmac_f32_e32 v132, 0xbf06c442, v26
	v_add_f32_e32 v42, v24, v97
	v_fmac_f32_e32 v95, 0xbf7ee86f, v28
	v_add_f32_e32 v0, v0, v37
	v_fma_f32 v37, 0xbf59a7d5, v30, -v140
	v_fmac_f32_e32 v144, 0xbe8c1d8e, v41
	v_add_f32_e32 v15, v142, v145
	v_add_f32_e32 v145, v148, v149
	v_fmamk_f32 v148, v36, 0x3e3c28d5, v138
	v_add_f32_e32 v147, v147, v150
	v_fmamk_f32 v149, v29, 0x3dbcf732, v141
	v_mul_f32_e32 v142, 0xbf2c7751, v78
	v_add_f32_e32 v40, v40, v132
	v_fmac_f32_e32 v136, 0x3f7ee86f, v25
	v_add_f32_e32 v42, v42, v95
	v_fmac_f32_e32 v99, 0xbf4c4adb, v27
	v_add_f32_e32 v0, v0, v37
	v_fma_f32 v37, 0x3dbcf732, v29, -v141
	v_add_f32_e32 v14, v14, v144
	v_add_f32_e32 v144, v145, v148
	;; [unrolled: 1-line block ×3, first 2 shown]
	v_fmamk_f32 v147, v38, 0x3f3d2fb0, v142
	v_fmac_f32_e32 v131, 0xbe8c1d8e, v33
	v_mul_f32_e32 v148, 0xbe3c28d5, v79
	v_add_f32_e32 v130, v24, v130
	v_add_f32_e32 v40, v40, v136
	v_fmac_f32_e32 v137, 0xbf2c7751, v35
	v_add_f32_e32 v42, v42, v99
	v_fmac_f32_e32 v101, 0xbe3c28d5, v26
	v_add_f32_e32 v0, v0, v37
	v_fma_f32 v37, 0x3f3d2fb0, v38, -v142
	v_add_f32_e32 v145, v145, v147
	v_add_f32_e32 v131, v17, v131
	v_fmac_f32_e32 v127, 0xbf59a7d5, v32
	v_fmamk_f32 v147, v43, 0xbf7ba420, v148
	v_add_f32_e32 v21, v130, v21
	v_mul_f32_e32 v130, 0x3ee437d1, v80
	v_add_f32_e32 v40, v40, v137
	v_fmac_f32_e32 v138, 0xbe3c28d5, v36
	v_add_f32_e32 v42, v42, v101
	v_fmac_f32_e32 v104, 0x3f06c442, v25
	v_add_f32_e32 v0, v0, v37
	v_fma_f32 v37, 0xbf7ba420, v43, -v148
	v_add_f32_e32 v127, v131, v127
	v_add_f32_e32 v131, v145, v147
	v_fmamk_f32 v145, v39, 0xbf65296c, v130
	v_add_f32_e32 v40, v40, v138
	v_fmac_f32_e32 v130, 0x3f65296c, v39
	v_add_f32_e32 v42, v42, v104
	v_fmac_f32_e32 v106, 0x3f763a35, v35
	v_add_f32_e32 v0, v0, v37
	v_fma_f32 v37, 0x3f3d2fb0, v33, -v96
	v_add_f32_e32 v49, v40, v130
	v_fmac_f32_e32 v87, 0xbeb8f4ab, v34
	v_add_f32_e32 v40, v42, v106
	v_fma_f32 v42, 0x3dbcf732, v32, -v100
	v_add_f32_e32 v37, v17, v37
	v_fma_f32 v33, 0x3f6eb680, v33, -v69
	v_add_f32_e32 v24, v24, v87
	v_fmac_f32_e32 v86, 0xbf2c7751, v28
	v_fma_f32 v28, 0x3f3d2fb0, v32, -v68
	v_add_f32_e32 v34, v37, v42
	v_fma_f32 v37, 0xbf1a4643, v31, -v103
	v_add_f32_e32 v17, v17, v33
	;; [unrolled: 2-line block ×3, first 2 shown]
	v_fmac_f32_e32 v113, 0xbf65296c, v27
	v_add_f32_e32 v32, v34, v37
	v_add_f32_e32 v17, v17, v28
	v_fma_f32 v27, 0x3ee437d1, v31, -v67
	v_fmac_f32_e32 v126, 0x3f3d2fb0, v31
	v_fma_f32 v31, 0xbf59a7d5, v29, -v107
	v_add_f32_e32 v28, v32, v33
	v_add_f32_e32 v24, v24, v113
	v_fmac_f32_e32 v110, 0xbf7ee86f, v26
	v_add_f32_e32 v17, v17, v27
	v_fma_f32 v26, 0x3dbcf732, v30, -v52
	v_add_f32_e32 v27, v28, v31
	v_fma_f32 v28, 0xbe8c1d8e, v38, -v102
	v_add_f32_e32 v24, v24, v110
	v_fmac_f32_e32 v77, 0xbf763a35, v25
	v_add_f32_e32 v17, v17, v26
	v_fma_f32 v25, 0xbe8c1d8e, v29, -v55
	v_add_f32_e32 v129, v21, v129
	v_add_f32_e32 v126, v127, v126
	v_fmac_f32_e32 v119, 0x3ee437d1, v30
	v_add_f32_e32 v26, v27, v28
	v_fma_f32 v27, 0x3ee437d1, v43, -v108
	v_add_f32_e32 v24, v24, v77
	v_fmac_f32_e32 v71, 0xbf4c4adb, v35
	v_add_f32_e32 v17, v17, v25
	v_fma_f32 v25, 0xbf1a4643, v38, -v58
	v_add_f32_e32 v128, v129, v128
	v_add_f32_e32 v119, v126, v119
	v_fmac_f32_e32 v120, 0xbf7ba420, v29
	v_add_f32_e32 v26, v26, v27
	v_add_f32_e32 v24, v24, v71
	v_fmac_f32_e32 v64, 0xbf06c442, v36
	v_add_f32_e32 v25, v17, v25
	v_fma_f32 v27, 0xbf59a7d5, v43, -v53
	v_mov_b32_e32 v17, v1
	v_mul_f32_e32 v127, 0x3f65296c, v81
	v_add_f32_e32 v123, v128, v123
	v_fma_f32 v124, 0x3dbcf732, v83, -v124
	v_add_f32_e32 v119, v119, v120
	v_fmac_f32_e32 v121, 0x3dbcf732, v38
	v_add_f32_e32 v29, v24, v64
	v_add_f32_e32 v30, v25, v27
	v_lshlrev_b64 v[24:25], 3, v[16:17]
	v_fma_f32 v48, 0x3ee437d1, v41, -v127
	v_fmac_f32_e32 v98, 0x3f65296c, v36
	v_add_co_u32 v31, vcc_lo, s2, v18
	v_add_co_ci_u32_e32 v32, vcc_lo, s3, v19, vcc_lo
	v_add_f32_e32 v115, v123, v124
	v_fma_f32 v120, 0x3f6eb680, v82, -v125
	v_add_f32_e32 v119, v119, v121
	v_fmac_f32_e32 v122, 0x3f6eb680, v43
	v_add_f32_e32 v48, v0, v48
	v_add_f32_e32 v0, v40, v98
	v_fmac_f32_e32 v111, 0x3eb8f4ab, v39
	v_fma_f32 v28, 0x3f6eb680, v41, -v93
	v_add_co_u32 v17, vcc_lo, v31, v24
	v_fmac_f32_e32 v50, 0xbe3c28d5, v39
	v_add_co_ci_u32_e32 v18, vcc_lo, v32, v25, vcc_lo
	v_fma_f32 v19, 0xbf7ba420, v41, -v57
	v_fmamk_f32 v129, v41, 0x3ee437d1, v127
	v_add_f32_e32 v115, v115, v120
	v_add_f32_e32 v119, v119, v122
	v_fmac_f32_e32 v117, 0xbf1a4643, v41
	v_add_f32_e32 v25, v0, v111
	v_add_f32_e32 v24, v26, v28
	v_add_co_u32 v28, vcc_lo, 0x800, v17
	v_or_b32_e32 v0, 0x340, v16
	v_add_f32_e32 v27, v29, v50
	v_add_co_ci_u32_e32 v29, vcc_lo, 0, v18, vcc_lo
	v_add_f32_e32 v26, v30, v19
	v_add_co_u32 v19, vcc_lo, 0x1000, v17
	v_add_f32_e32 v11, v11, v155
	v_add_f32_e32 v20, v131, v129
	;; [unrolled: 1-line block ×5, first 2 shown]
	global_store_dwordx2 v[17:18], v[46:47], off
	global_store_dwordx2 v[17:18], v[44:45], off offset:416
	global_store_dwordx2 v[17:18], v[84:85], off offset:832
	;; [unrolled: 1-line block ×6, first 2 shown]
	v_add_co_ci_u32_e32 v20, vcc_lo, 0, v18, vcc_lo
	v_lshlrev_b64 v[0:1], 3, v[0:1]
	global_store_dwordx2 v[28:29], v[14:15], off offset:864
	global_store_dwordx2 v[28:29], v[12:13], off offset:1280
	global_store_dwordx2 v[28:29], v[10:11], off offset:1696
	global_store_dwordx2 v[19:20], v[8:9], off offset:64
	global_store_dwordx2 v[19:20], v[48:49], off offset:480
	v_add_co_u32 v8, vcc_lo, 0x1800, v17
	v_add_co_ci_u32_e32 v9, vcc_lo, 0, v18, vcc_lo
	v_add_co_u32 v0, vcc_lo, v31, v0
	v_add_co_ci_u32_e32 v1, vcc_lo, v32, v1, vcc_lo
	global_store_dwordx2 v[19:20], v[6:7], off offset:896
	global_store_dwordx2 v[19:20], v[4:5], off offset:1312
	;; [unrolled: 1-line block ×4, first 2 shown]
	global_store_dwordx2 v[0:1], v[26:27], off
	s_endpgm
	.section	.rodata,"a",@progbits
	.p2align	6, 0x0
	.amdhsa_kernel fft_rtc_back_len884_factors_13_4_17_wgs_204_tpt_68_halfLds_sp_ip_CI_unitstride_sbrr_dirReg
		.amdhsa_group_segment_fixed_size 0
		.amdhsa_private_segment_fixed_size 0
		.amdhsa_kernarg_size 88
		.amdhsa_user_sgpr_count 6
		.amdhsa_user_sgpr_private_segment_buffer 1
		.amdhsa_user_sgpr_dispatch_ptr 0
		.amdhsa_user_sgpr_queue_ptr 0
		.amdhsa_user_sgpr_kernarg_segment_ptr 1
		.amdhsa_user_sgpr_dispatch_id 0
		.amdhsa_user_sgpr_flat_scratch_init 0
		.amdhsa_user_sgpr_private_segment_size 0
		.amdhsa_wavefront_size32 1
		.amdhsa_uses_dynamic_stack 0
		.amdhsa_system_sgpr_private_segment_wavefront_offset 0
		.amdhsa_system_sgpr_workgroup_id_x 1
		.amdhsa_system_sgpr_workgroup_id_y 0
		.amdhsa_system_sgpr_workgroup_id_z 0
		.amdhsa_system_sgpr_workgroup_info 0
		.amdhsa_system_vgpr_workitem_id 0
		.amdhsa_next_free_vgpr 158
		.amdhsa_next_free_sgpr 21
		.amdhsa_reserve_vcc 1
		.amdhsa_reserve_flat_scratch 0
		.amdhsa_float_round_mode_32 0
		.amdhsa_float_round_mode_16_64 0
		.amdhsa_float_denorm_mode_32 3
		.amdhsa_float_denorm_mode_16_64 3
		.amdhsa_dx10_clamp 1
		.amdhsa_ieee_mode 1
		.amdhsa_fp16_overflow 0
		.amdhsa_workgroup_processor_mode 1
		.amdhsa_memory_ordered 1
		.amdhsa_forward_progress 0
		.amdhsa_shared_vgpr_count 0
		.amdhsa_exception_fp_ieee_invalid_op 0
		.amdhsa_exception_fp_denorm_src 0
		.amdhsa_exception_fp_ieee_div_zero 0
		.amdhsa_exception_fp_ieee_overflow 0
		.amdhsa_exception_fp_ieee_underflow 0
		.amdhsa_exception_fp_ieee_inexact 0
		.amdhsa_exception_int_div_zero 0
	.end_amdhsa_kernel
	.text
.Lfunc_end0:
	.size	fft_rtc_back_len884_factors_13_4_17_wgs_204_tpt_68_halfLds_sp_ip_CI_unitstride_sbrr_dirReg, .Lfunc_end0-fft_rtc_back_len884_factors_13_4_17_wgs_204_tpt_68_halfLds_sp_ip_CI_unitstride_sbrr_dirReg
                                        ; -- End function
	.section	.AMDGPU.csdata,"",@progbits
; Kernel info:
; codeLenInByte = 11788
; NumSgprs: 23
; NumVgprs: 158
; ScratchSize: 0
; MemoryBound: 0
; FloatMode: 240
; IeeeMode: 1
; LDSByteSize: 0 bytes/workgroup (compile time only)
; SGPRBlocks: 2
; VGPRBlocks: 19
; NumSGPRsForWavesPerEU: 23
; NumVGPRsForWavesPerEU: 158
; Occupancy: 6
; WaveLimiterHint : 1
; COMPUTE_PGM_RSRC2:SCRATCH_EN: 0
; COMPUTE_PGM_RSRC2:USER_SGPR: 6
; COMPUTE_PGM_RSRC2:TRAP_HANDLER: 0
; COMPUTE_PGM_RSRC2:TGID_X_EN: 1
; COMPUTE_PGM_RSRC2:TGID_Y_EN: 0
; COMPUTE_PGM_RSRC2:TGID_Z_EN: 0
; COMPUTE_PGM_RSRC2:TIDIG_COMP_CNT: 0
	.text
	.p2alignl 6, 3214868480
	.fill 48, 4, 3214868480
	.type	__hip_cuid_fd649c3fccbe09eb,@object ; @__hip_cuid_fd649c3fccbe09eb
	.section	.bss,"aw",@nobits
	.globl	__hip_cuid_fd649c3fccbe09eb
__hip_cuid_fd649c3fccbe09eb:
	.byte	0                               ; 0x0
	.size	__hip_cuid_fd649c3fccbe09eb, 1

	.ident	"AMD clang version 19.0.0git (https://github.com/RadeonOpenCompute/llvm-project roc-6.4.0 25133 c7fe45cf4b819c5991fe208aaa96edf142730f1d)"
	.section	".note.GNU-stack","",@progbits
	.addrsig
	.addrsig_sym __hip_cuid_fd649c3fccbe09eb
	.amdgpu_metadata
---
amdhsa.kernels:
  - .args:
      - .actual_access:  read_only
        .address_space:  global
        .offset:         0
        .size:           8
        .value_kind:     global_buffer
      - .offset:         8
        .size:           8
        .value_kind:     by_value
      - .actual_access:  read_only
        .address_space:  global
        .offset:         16
        .size:           8
        .value_kind:     global_buffer
      - .actual_access:  read_only
        .address_space:  global
        .offset:         24
        .size:           8
        .value_kind:     global_buffer
      - .offset:         32
        .size:           8
        .value_kind:     by_value
      - .actual_access:  read_only
        .address_space:  global
        .offset:         40
        .size:           8
        .value_kind:     global_buffer
      - .actual_access:  read_only
        .address_space:  global
        .offset:         48
        .size:           8
        .value_kind:     global_buffer
      - .offset:         56
        .size:           4
        .value_kind:     by_value
      - .actual_access:  read_only
        .address_space:  global
        .offset:         64
        .size:           8
        .value_kind:     global_buffer
      - .actual_access:  read_only
        .address_space:  global
        .offset:         72
        .size:           8
        .value_kind:     global_buffer
      - .address_space:  global
        .offset:         80
        .size:           8
        .value_kind:     global_buffer
    .group_segment_fixed_size: 0
    .kernarg_segment_align: 8
    .kernarg_segment_size: 88
    .language:       OpenCL C
    .language_version:
      - 2
      - 0
    .max_flat_workgroup_size: 204
    .name:           fft_rtc_back_len884_factors_13_4_17_wgs_204_tpt_68_halfLds_sp_ip_CI_unitstride_sbrr_dirReg
    .private_segment_fixed_size: 0
    .sgpr_count:     23
    .sgpr_spill_count: 0
    .symbol:         fft_rtc_back_len884_factors_13_4_17_wgs_204_tpt_68_halfLds_sp_ip_CI_unitstride_sbrr_dirReg.kd
    .uniform_work_group_size: 1
    .uses_dynamic_stack: false
    .vgpr_count:     158
    .vgpr_spill_count: 0
    .wavefront_size: 32
    .workgroup_processor_mode: 1
amdhsa.target:   amdgcn-amd-amdhsa--gfx1030
amdhsa.version:
  - 1
  - 2
...

	.end_amdgpu_metadata
